;; amdgpu-corpus repo=ROCm/rocFFT kind=compiled arch=gfx1201 opt=O3
	.text
	.amdgcn_target "amdgcn-amd-amdhsa--gfx1201"
	.amdhsa_code_object_version 6
	.protected	bluestein_single_fwd_len1375_dim1_half_op_CI_CI ; -- Begin function bluestein_single_fwd_len1375_dim1_half_op_CI_CI
	.globl	bluestein_single_fwd_len1375_dim1_half_op_CI_CI
	.p2align	8
	.type	bluestein_single_fwd_len1375_dim1_half_op_CI_CI,@function
bluestein_single_fwd_len1375_dim1_half_op_CI_CI: ; @bluestein_single_fwd_len1375_dim1_half_op_CI_CI
; %bb.0:
	s_load_b128 s[12:15], s[0:1], 0x28
	v_mul_u32_u24_e32 v1, 0x4a8, v0
	s_mov_b32 s2, exec_lo
	v_mov_b32_e32 v59, 0
	s_delay_alu instid0(VALU_DEP_2) | instskip(NEXT) | instid1(VALU_DEP_1)
	v_lshrrev_b32_e32 v1, 16, v1
	v_add_nc_u32_e32 v58, ttmp9, v1
	s_wait_kmcnt 0x0
	s_delay_alu instid0(VALU_DEP_1)
	v_cmpx_gt_u64_e64 s[12:13], v[58:59]
	s_cbranch_execz .LBB0_15
; %bb.1:
	s_clause 0x1
	s_load_b128 s[4:7], s[0:1], 0x18
	s_load_b64 s[12:13], s[0:1], 0x0
	v_mul_lo_u16 v1, v1, 55
	s_delay_alu instid0(VALU_DEP_1) | instskip(NEXT) | instid1(VALU_DEP_1)
	v_sub_nc_u16 v8, v0, v1
	v_and_b32_e32 v128, 0xffff, v8
	s_wait_kmcnt 0x0
	s_load_b128 s[8:11], s[4:5], 0x0
	s_wait_kmcnt 0x0
	v_mad_co_u64_u32 v[0:1], null, s10, v58, 0
	v_mad_co_u64_u32 v[2:3], null, s8, v128, 0
	s_mul_u64 s[2:3], s[8:9], 0x7d
	s_delay_alu instid0(VALU_DEP_1) | instskip(SKIP_1) | instid1(VALU_DEP_1)
	v_mad_co_u64_u32 v[4:5], null, s11, v58, v[1:2]
	s_load_b64 s[10:11], s[0:1], 0x38
	v_mov_b32_e32 v1, v4
	s_delay_alu instid0(VALU_DEP_3)
	v_mad_co_u64_u32 v[5:6], null, s9, v128, v[3:4]
	v_lshlrev_b32_e32 v91, 2, v128
	s_clause 0x2
	global_load_b32 v132, v91, s[12:13]
	global_load_b32 v124, v91, s[12:13] offset:2000
	global_load_b32 v116, v91, s[12:13] offset:4000
	v_mov_b32_e32 v3, v5
	v_lshlrev_b64_e32 v[0:1], 2, v[0:1]
	s_clause 0x7
	global_load_b32 v106, v91, s[12:13] offset:1720
	global_load_b32 v129, v91, s[12:13] offset:1500
	;; [unrolled: 1-line block ×8, first 2 shown]
	v_lshlrev_b64_e32 v[4:5], 2, v[2:3]
	s_clause 0x3
	global_load_b32 v120, v91, s[12:13] offset:3500
	global_load_b32 v100, v91, s[12:13] offset:3220
	;; [unrolled: 1-line block ×4, first 2 shown]
	v_add_co_u32 v2, vcc_lo, s14, v0
	v_add_co_ci_u32_e32 v3, vcc_lo, s15, v1, vcc_lo
	s_lshl_b64 s[14:15], s[2:3], 2
	s_delay_alu instid0(VALU_DEP_2) | instskip(SKIP_1) | instid1(VALU_DEP_2)
	v_add_co_u32 v0, vcc_lo, v2, v4
	s_wait_alu 0xfffd
	v_add_co_ci_u32_e32 v1, vcc_lo, v3, v5, vcc_lo
	s_clause 0x2
	global_load_b32 v126, v91, s[12:13] offset:2500
	global_load_b32 v104, v91, s[12:13] offset:2220
	global_load_b32 v93, v91, s[12:13] offset:5220
	s_wait_alu 0xfffe
	v_add_co_u32 v4, vcc_lo, v0, s14
	s_wait_alu 0xfffd
	v_add_co_ci_u32_e32 v5, vcc_lo, s15, v1, vcc_lo
	s_clause 0x3
	global_load_b32 v115, v91, s[12:13] offset:5000
	global_load_b32 v94, v91, s[12:13] offset:4720
	;; [unrolled: 1-line block ×4, first 2 shown]
	global_load_b32 v9, v[0:1], off
	s_movk_i32 s2, 0xfb55
	global_load_b32 v10, v[4:5], off
	v_add_co_u32 v0, vcc_lo, v4, s14
	s_wait_alu 0xfffd
	v_add_co_ci_u32_e32 v1, vcc_lo, s15, v5, vcc_lo
	s_mov_b32 s3, -1
	s_delay_alu instid0(VALU_DEP_2) | instskip(SKIP_1) | instid1(VALU_DEP_2)
	v_add_co_u32 v4, vcc_lo, v0, s14
	s_wait_alu 0xfffd
	v_add_co_ci_u32_e32 v5, vcc_lo, s15, v1, vcc_lo
	s_clause 0x1
	global_load_b32 v11, v[0:1], off
	global_load_b32 v12, v[4:5], off
	v_add_co_u32 v0, vcc_lo, v4, s14
	s_wait_alu 0xfffd
	v_add_co_ci_u32_e32 v1, vcc_lo, s15, v5, vcc_lo
	s_mul_u64 s[2:3], s[8:9], s[2:3]
	s_delay_alu instid0(VALU_DEP_2) | instskip(SKIP_1) | instid1(VALU_DEP_2)
	v_add_co_u32 v4, vcc_lo, v0, s14
	s_wait_alu 0xfffd
	v_add_co_ci_u32_e32 v5, vcc_lo, s15, v1, vcc_lo
	global_load_b32 v13, v[0:1], off
	v_add_co_u32 v0, vcc_lo, v4, s14
	s_wait_alu 0xfffd
	v_add_co_ci_u32_e32 v1, vcc_lo, s15, v5, vcc_lo
	global_load_b32 v14, v[4:5], off
	;; [unrolled: 4-line block ×4, first 2 shown]
	global_load_b32 v17, v[0:1], off
	v_add_co_u32 v0, vcc_lo, v0, s14
	s_wait_alu 0xfffd
	v_add_co_ci_u32_e32 v1, vcc_lo, s15, v1, vcc_lo
	s_lshl_b64 s[2:3], s[2:3], 2
	s_delay_alu instid0(VALU_DEP_2) | instskip(SKIP_1) | instid1(VALU_DEP_2)
	v_add_co_u32 v4, vcc_lo, v0, s14
	s_wait_alu 0xfffd
	v_add_co_ci_u32_e32 v5, vcc_lo, s15, v1, vcc_lo
	global_load_b32 v18, v[0:1], off
	v_add_co_u32 v0, vcc_lo, v4, s2
	s_wait_alu 0xfffd
	v_add_co_ci_u32_e32 v1, vcc_lo, s3, v5, vcc_lo
	global_load_b32 v19, v[4:5], off
	v_add_co_u32 v56, s16, s12, v91
	global_load_b32 v20, v[0:1], off
	v_add_co_u32 v0, vcc_lo, v0, s14
	s_wait_alu 0xfffd
	v_add_co_ci_u32_e32 v1, vcc_lo, s15, v1, vcc_lo
	v_or_b32_e32 v92, 0x550, v128
	s_delay_alu instid0(VALU_DEP_3) | instskip(SKIP_1) | instid1(VALU_DEP_3)
	v_add_co_u32 v4, vcc_lo, v0, s14
	s_wait_alu 0xfffd
	v_add_co_ci_u32_e32 v5, vcc_lo, s15, v1, vcc_lo
	global_load_b32 v21, v[0:1], off
	global_load_b32 v22, v[4:5], off
	v_add_co_u32 v0, vcc_lo, v4, s14
	s_wait_alu 0xfffd
	v_add_co_ci_u32_e32 v1, vcc_lo, s15, v5, vcc_lo
	v_add_co_ci_u32_e64 v57, null, s13, 0, s16
	s_delay_alu instid0(VALU_DEP_3) | instskip(SKIP_1) | instid1(VALU_DEP_3)
	v_add_co_u32 v4, vcc_lo, v0, s14
	s_wait_alu 0xfffd
	v_add_co_ci_u32_e32 v5, vcc_lo, s15, v1, vcc_lo
	global_load_b32 v23, v[0:1], off
	global_load_b32 v24, v[4:5], off
	v_add_co_u32 v0, vcc_lo, v4, s14
	s_wait_alu 0xfffd
	v_add_co_ci_u32_e32 v1, vcc_lo, s15, v5, vcc_lo
	s_delay_alu instid0(VALU_DEP_2) | instskip(SKIP_1) | instid1(VALU_DEP_2)
	v_add_co_u32 v4, vcc_lo, v0, s14
	s_wait_alu 0xfffd
	v_add_co_ci_u32_e32 v5, vcc_lo, s15, v1, vcc_lo
	global_load_b32 v25, v[0:1], off
	v_add_co_u32 v0, vcc_lo, v4, s14
	s_wait_alu 0xfffd
	v_add_co_ci_u32_e32 v1, vcc_lo, s15, v5, vcc_lo
	global_load_b32 v26, v[4:5], off
	v_add_co_u32 v4, vcc_lo, v0, s14
	s_wait_alu 0xfffd
	v_add_co_ci_u32_e32 v5, vcc_lo, s15, v1, vcc_lo
	global_load_b32 v27, v[0:1], off
	v_add_co_u32 v6, vcc_lo, v4, s14
	s_wait_alu 0xfffd
	v_add_co_ci_u32_e32 v7, vcc_lo, s15, v5, vcc_lo
	global_load_b32 v4, v[4:5], off
	v_add_co_u32 v0, vcc_lo, v6, s14
	s_wait_alu 0xfffd
	v_add_co_ci_u32_e32 v1, vcc_lo, s15, v7, vcc_lo
	global_load_b32 v5, v[6:7], off
	global_load_b32 v6, v[0:1], off
	v_cmp_gt_u16_e32 vcc_lo, 15, v8
	s_load_b128 s[4:7], s[6:7], 0x0
	s_wait_loadcnt 0x2b
	v_lshrrev_b32_e32 v137, 16, v132
	s_wait_loadcnt 0x27
	v_lshrrev_b32_e32 v133, 16, v129
	v_lshrrev_b32_e32 v130, 16, v124
	s_wait_loadcnt 0x25
	v_lshrrev_b32_e32 v135, 16, v131
	;; [unrolled: 3-line block ×3, first 2 shown]
	s_wait_loadcnt 0x20
	v_lshrrev_b32_e32 v122, 16, v120
	v_lshrrev_b32_e32 v114, 16, v112
	s_wait_loadcnt 0x1e
	v_lshrrev_b32_e32 v125, 16, v123
	v_lshrrev_b32_e32 v113, 16, v110
	;; [unrolled: 1-line block ×4, first 2 shown]
	s_wait_loadcnt 0x1d
	v_lshrrev_b32_e32 v105, 16, v102
	v_lshrrev_b32_e32 v103, 16, v100
	v_lshrrev_b32_e32 v101, 16, v98
	s_wait_loadcnt 0x1c
	v_lshrrev_b32_e32 v127, 16, v126
	s_wait_loadcnt 0x1b
	v_lshrrev_b32_e32 v107, 16, v104
	s_wait_loadcnt 0x1a
	v_lshrrev_b32_e32 v95, 16, v93
	s_wait_loadcnt 0x19
	v_lshrrev_b32_e32 v117, 16, v115
	s_wait_loadcnt 0x18
	v_lshrrev_b32_e32 v96, 16, v94
	s_wait_loadcnt 0x17
	v_lshrrev_b32_e32 v119, 16, v118
	s_wait_loadcnt 0x16
	v_lshrrev_b32_e32 v99, 16, v97
	s_wait_loadcnt 0x15
	v_lshrrev_b32_e32 v7, 16, v9
	v_mul_f16_e64 v8, v137, v9
	s_wait_loadcnt 0x14
	v_lshrrev_b32_e32 v29, 16, v10
	v_mul_f16_e64 v30, v136, v10
	v_mul_f16_e64 v28, v137, v7
	v_fma_f16 v7, v132, v7, -v8
	s_delay_alu instid0(VALU_DEP_4) | instskip(NEXT) | instid1(VALU_DEP_4)
	v_mul_f16_e64 v8, v136, v29
	v_fma_f16 v29, v134, v29, -v30
	s_delay_alu instid0(VALU_DEP_4) | instskip(NEXT) | instid1(VALU_DEP_3)
	v_fmac_f16_e64 v28, v132, v9
	v_fmac_f16_e64 v8, v134, v10
	s_wait_loadcnt 0x13
	v_lshrrev_b32_e32 v9, 16, v11
	v_mul_f16_e64 v30, v135, v11
	v_pack_b32_f16 v7, v28, v7
	s_wait_loadcnt 0x12
	v_lshrrev_b32_e32 v28, 16, v12
	v_pack_b32_f16 v8, v8, v29
	v_mul_f16_e64 v10, v135, v9
	v_fma_f16 v9, v131, v9, -v30
	v_mul_f16_e64 v30, v133, v12
	s_delay_alu instid0(VALU_DEP_3)
	v_fmac_f16_e64 v10, v131, v11
	v_mul_f16_e64 v11, v133, v28
	s_wait_loadcnt 0x11
	v_lshrrev_b32_e32 v29, 16, v13
	v_fma_f16 v28, v129, v28, -v30
	v_mul_f16_e64 v30, v130, v13
	v_pack_b32_f16 v9, v10, v9
	v_fmac_f16_e64 v11, v129, v12
	v_mul_f16_e64 v10, v130, v29
	s_wait_loadcnt 0x10
	v_lshrrev_b32_e32 v12, 16, v14
	v_fma_f16 v29, v124, v29, -v30
	v_mul_f16_e32 v30, v127, v14
	v_pack_b32_f16 v11, v11, v28
	v_fmac_f16_e32 v10, v124, v13
	v_mul_f16_e32 v13, v127, v12
	s_wait_loadcnt 0xf
	v_lshrrev_b32_e32 v28, 16, v15
	v_fma_f16 v12, v126, v12, -v30
	v_mul_f16_e32 v30, v125, v15
	v_pack_b32_f16 v10, v10, v29
	v_fmac_f16_e32 v13, v126, v14
	v_mul_f16_e32 v14, v125, v28
	;; [unrolled: 7-line block ×4, first 2 shown]
	s_wait_loadcnt 0xc
	v_lshrrev_b32_e32 v28, 16, v18
	v_fma_f16 v15, v116, v15, -v30
	s_wait_loadcnt 0xb
	v_mul_f16_e32 v31, v117, v19
	v_pack_b32_f16 v13, v13, v29
	v_fmac_f16_e32 v16, v116, v17
	v_mul_f16_e32 v17, v119, v28
	v_lshrrev_b32_e32 v29, 16, v19
	v_mul_f16_e32 v30, v119, v18
	s_delay_alu instid0(VALU_DEP_4) | instskip(NEXT) | instid1(VALU_DEP_4)
	v_pack_b32_f16 v15, v16, v15
	v_fmac_f16_e32 v17, v118, v18
	s_delay_alu instid0(VALU_DEP_4)
	v_mul_f16_e32 v16, v117, v29
	v_fma_f16 v18, v115, v29, -v31
	s_wait_loadcnt 0xa
	v_lshrrev_b32_e32 v29, 16, v20
	v_fma_f16 v28, v118, v28, -v30
	v_mul_f16_e32 v30, v114, v20
	ds_store_b32 v91, v8 offset:500
	ds_store_b32 v91, v9 offset:1000
	ds_store_b32 v91, v11 offset:1500
	ds_store_b32 v91, v10 offset:2000
	ds_store_b32 v91, v12 offset:2500
	ds_store_b32 v91, v14 offset:3000
	ds_store_b32 v91, v13 offset:3500
	ds_store_b32 v91, v15 offset:4000
	s_wait_loadcnt 0x9
	v_lshrrev_b32_e32 v10, 16, v21
	v_mul_f16_e32 v9, v114, v29
	v_mul_f16_e32 v11, v113, v21
	v_fmac_f16_e32 v16, v115, v19
	v_pack_b32_f16 v8, v17, v28
	v_fma_f16 v12, v112, v29, -v30
	v_fmac_f16_e32 v9, v112, v20
	v_mul_f16_e32 v14, v113, v10
	v_fma_f16 v10, v110, v10, -v11
	s_wait_loadcnt 0x8
	v_lshrrev_b32_e32 v11, 16, v22
	v_pack_b32_f16 v13, v16, v18
	v_mul_f16_e32 v15, v111, v22
	ds_store_b32 v91, v8 offset:4500
	ds_store_b32 v91, v13 offset:5000
	v_pack_b32_f16 v8, v9, v12
	v_fmac_f16_e32 v14, v110, v21
	v_mul_f16_e32 v9, v111, v11
	s_wait_loadcnt 0x7
	v_lshrrev_b32_e32 v12, 16, v23
	v_fma_f16 v11, v108, v11, -v15
	v_mul_f16_e32 v13, v109, v23
	ds_store_2addr_b32 v91, v7, v8 offset1:55
	v_pack_b32_f16 v7, v14, v10
	v_fmac_f16_e32 v9, v108, v22
	v_mul_f16_e32 v8, v109, v12
	s_wait_loadcnt 0x6
	v_lshrrev_b32_e32 v10, 16, v24
	v_fma_f16 v12, v106, v12, -v13
	v_mul_f16_e32 v13, v107, v24
	v_pack_b32_f16 v9, v9, v11
	v_fmac_f16_e32 v8, v106, v23
	v_mul_f16_e32 v11, v107, v10
	s_wait_loadcnt 0x5
	v_lshrrev_b32_e32 v14, 16, v25
	v_mul_f16_e32 v15, v105, v25
	v_fma_f16 v10, v104, v10, -v13
	v_pack_b32_f16 v8, v8, v12
	v_fmac_f16_e32 v11, v104, v24
	v_mul_f16_e32 v12, v105, v14
	v_fma_f16 v13, v102, v14, -v15
	s_wait_loadcnt 0x4
	v_lshrrev_b32_e32 v14, 16, v26
	v_mul_f16_e32 v15, v103, v26
	v_pack_b32_f16 v10, v11, v10
	v_fmac_f16_e32 v12, v102, v25
	s_wait_loadcnt 0x3
	v_lshrrev_b32_e32 v11, 16, v27
	v_mul_f16_e32 v16, v103, v14
	v_fma_f16 v14, v100, v14, -v15
	v_mul_f16_e32 v15, v101, v27
	v_pack_b32_f16 v12, v12, v13
	v_mul_f16_e32 v13, v101, v11
	s_wait_loadcnt 0x2
	v_lshrrev_b32_e32 v17, 16, v4
	s_wait_loadcnt 0x1
	v_lshrrev_b32_e32 v18, 16, v5
	v_fma_f16 v11, v98, v11, -v15
	v_mul_f16_e32 v15, v99, v4
	s_wait_loadcnt 0x0
	v_lshrrev_b32_e32 v20, 16, v6
	v_mul_f16_e32 v19, v99, v17
	v_mul_f16_e32 v21, v96, v18
	;; [unrolled: 1-line block ×3, first 2 shown]
	v_fma_f16 v15, v97, v17, -v15
	v_mul_f16_e32 v17, v96, v5
	v_mul_f16_e32 v23, v95, v20
	v_fmac_f16_e32 v16, v100, v26
	v_fmac_f16_e32 v13, v98, v27
	;; [unrolled: 1-line block ×3, first 2 shown]
	v_fma_f16 v4, v94, v18, -v17
	v_fmac_f16_e32 v21, v94, v5
	v_fma_f16 v5, v93, v20, -v22
	v_fmac_f16_e32 v23, v93, v6
	v_pack_b32_f16 v6, v16, v14
	v_pack_b32_f16 v11, v13, v11
	;; [unrolled: 1-line block ×5, first 2 shown]
	ds_store_b32 v91, v7 offset:720
	ds_store_b32 v91, v9 offset:1220
	;; [unrolled: 1-line block ×10, first 2 shown]
	s_and_saveexec_b32 s16, vcc_lo
	s_cbranch_execz .LBB0_3
; %bb.2:
	v_add_co_u32 v0, s2, v0, s2
	s_wait_alu 0xf1ff
	v_add_co_ci_u32_e64 v1, s2, s3, v1, s2
	v_add_nc_u32_e32 v25, 0x1000, v91
	s_delay_alu instid0(VALU_DEP_3) | instskip(SKIP_1) | instid1(VALU_DEP_3)
	v_add_co_u32 v4, s2, v0, s14
	s_wait_alu 0xf1ff
	v_add_co_ci_u32_e64 v5, s2, s15, v1, s2
	s_delay_alu instid0(VALU_DEP_2) | instskip(SKIP_1) | instid1(VALU_DEP_2)
	v_add_co_u32 v6, s2, v4, s14
	s_wait_alu 0xf1ff
	v_add_co_ci_u32_e64 v7, s2, s15, v5, s2
	global_load_b32 v10, v[0:1], off
	global_load_b32 v11, v[4:5], off
	;; [unrolled: 1-line block ×3, first 2 shown]
	s_clause 0x7
	global_load_b32 v13, v[56:57], off offset:440
	global_load_b32 v14, v[56:57], off offset:940
	;; [unrolled: 1-line block ×8, first 2 shown]
	v_mad_co_u64_u32 v[0:1], null, s8, v92, 0
	v_add_co_u32 v4, s2, v6, s14
	s_wait_alu 0xf1ff
	v_add_co_ci_u32_e64 v5, s2, s15, v7, s2
	s_clause 0x1
	global_load_b32 v21, v[56:57], off offset:4440
	global_load_b32 v22, v[56:57], off offset:4940
	v_add_co_u32 v6, s2, v4, s14
	v_mad_co_u64_u32 v[8:9], null, s9, v92, v[1:2]
	s_wait_alu 0xf1ff
	v_add_co_ci_u32_e64 v7, s2, s15, v5, s2
	global_load_b32 v23, v[56:57], off offset:5440
	global_load_b32 v9, v[4:5], off
	global_load_b32 v24, v[6:7], off
	v_add_co_u32 v4, s2, v6, s14
	v_mov_b32_e32 v1, v8
	s_wait_alu 0xf1ff
	v_add_co_ci_u32_e64 v5, s2, s15, v7, s2
	s_delay_alu instid0(VALU_DEP_3) | instskip(NEXT) | instid1(VALU_DEP_3)
	v_add_co_u32 v6, s2, v4, s14
	v_lshlrev_b64_e32 v[0:1], 2, v[0:1]
	s_wait_alu 0xf1ff
	s_delay_alu instid0(VALU_DEP_3)
	v_add_co_ci_u32_e64 v7, s2, s15, v5, s2
	global_load_b32 v4, v[4:5], off
	global_load_b32 v5, v[6:7], off
	v_add_co_u32 v0, s2, v2, v0
	s_wait_alu 0xf1ff
	v_add_co_ci_u32_e64 v1, s2, v3, v1, s2
	v_add_co_u32 v2, s2, v6, s14
	s_wait_alu 0xf1ff
	v_add_co_ci_u32_e64 v3, s2, s15, v7, s2
	global_load_b32 v6, v[0:1], off
	v_add_co_u32 v0, s2, v2, s14
	s_wait_alu 0xf1ff
	v_add_co_ci_u32_e64 v1, s2, s15, v3, s2
	global_load_b32 v7, v[2:3], off
	;; [unrolled: 4-line block ×3, first 2 shown]
	global_load_b32 v1, v[2:3], off
	v_add_nc_u32_e32 v2, 0x400, v91
	v_add_nc_u32_e32 v3, 0x800, v91
	;; [unrolled: 1-line block ×3, first 2 shown]
	s_wait_loadcnt 0x15
	v_lshrrev_b32_e32 v33, 16, v10
	s_wait_loadcnt 0x14
	v_lshrrev_b32_e32 v38, 16, v11
	;; [unrolled: 2-line block ×7, first 2 shown]
	v_mul_f16_e32 v37, v26, v10
	v_mul_f16_e32 v26, v26, v33
	;; [unrolled: 1-line block ×3, first 2 shown]
	s_wait_loadcnt 0xd
	v_lshrrev_b32_e32 v31, 16, v18
	s_wait_loadcnt 0xc
	v_lshrrev_b32_e32 v32, 16, v19
	v_fma_f16 v33, v13, v33, -v37
	v_fmac_f16_e32 v26, v13, v10
	v_mul_f16_e32 v10, v27, v38
	v_lshrrev_b32_e32 v13, 16, v12
	v_fma_f16 v27, v14, v38, -v40
	v_mul_f16_e32 v37, v28, v12
	v_pack_b32_f16 v26, v26, v33
	v_fmac_f16_e32 v10, v14, v11
	v_mul_f16_e32 v11, v28, v13
	s_wait_loadcnt 0xb
	v_lshrrev_b32_e32 v34, 16, v20
	v_fma_f16 v13, v15, v13, -v37
	s_wait_loadcnt 0x8
	v_lshrrev_b32_e32 v39, 16, v23
	s_wait_loadcnt 0x7
	v_lshrrev_b32_e32 v14, 16, v9
	v_mul_f16_e32 v28, v29, v9
	v_pack_b32_f16 v10, v10, v27
	v_fmac_f16_e32 v11, v15, v12
	s_wait_loadcnt 0x6
	v_lshrrev_b32_e32 v15, 16, v24
	v_mul_f16_e32 v12, v29, v14
	v_fma_f16 v14, v16, v14, -v28
	ds_store_2addr_b32 v91, v26, v10 offset0:110 offset1:235
	v_pack_b32_f16 v10, v11, v13
	v_mul_f16_e32 v27, v30, v24
	v_fmac_f16_e32 v12, v16, v9
	v_mul_f16_e32 v9, v30, v15
	v_lshrrev_b32_e32 v35, 16, v21
	s_wait_loadcnt 0x5
	v_lshrrev_b32_e32 v11, 16, v4
	v_mul_f16_e32 v13, v31, v4
	v_pack_b32_f16 v12, v12, v14
	v_fma_f16 v15, v17, v15, -v27
	v_fmac_f16_e32 v9, v17, v24
	v_mul_f16_e32 v14, v31, v11
	v_fma_f16 v11, v18, v11, -v13
	s_wait_loadcnt 0x4
	v_lshrrev_b32_e32 v13, 16, v5
	v_mul_f16_e32 v16, v32, v5
	v_pack_b32_f16 v9, v9, v15
	v_fmac_f16_e32 v14, v18, v4
	v_lshrrev_b32_e32 v36, 16, v22
	v_mul_f16_e32 v4, v32, v13
	s_wait_loadcnt 0x3
	v_lshrrev_b32_e32 v17, 16, v6
	v_mul_f16_e32 v24, v39, v6
	s_wait_loadcnt 0x2
	v_lshrrev_b32_e32 v15, 16, v7
	v_fma_f16 v13, v19, v13, -v16
	v_mul_f16_e32 v16, v34, v7
	v_fmac_f16_e32 v4, v19, v5
	v_pack_b32_f16 v11, v14, v11
	v_mul_f16_e32 v14, v34, v15
	s_wait_loadcnt 0x1
	v_lshrrev_b32_e32 v5, 16, v0
	s_wait_loadcnt 0x0
	v_lshrrev_b32_e32 v19, 16, v1
	v_mul_f16_e32 v18, v39, v17
	v_fma_f16 v17, v23, v17, -v24
	v_fma_f16 v15, v20, v15, -v16
	v_mul_f16_e32 v16, v35, v0
	v_mul_f16_e32 v24, v35, v5
	;; [unrolled: 1-line block ×4, first 2 shown]
	v_fmac_f16_e32 v14, v20, v7
	v_fma_f16 v5, v21, v5, -v16
	v_fmac_f16_e32 v24, v21, v0
	v_fma_f16 v0, v22, v19, -v26
	v_fmac_f16_e32 v27, v22, v1
	v_fmac_f16_e32 v18, v23, v6
	v_pack_b32_f16 v1, v4, v13
	v_pack_b32_f16 v4, v14, v15
	;; [unrolled: 1-line block ×5, first 2 shown]
	ds_store_2addr_b32 v2, v10, v12 offset0:104 offset1:229
	ds_store_2addr_b32 v3, v9, v11 offset0:98 offset1:223
	;; [unrolled: 1-line block ×4, first 2 shown]
	ds_store_b32 v91, v6 offset:5440
.LBB0_3:
	s_wait_alu 0xfffe
	s_or_b32 exec_lo, exec_lo, s16
	v_add_nc_u32_e32 v0, 0x200, v91
	v_add_nc_u32_e32 v3, 0x400, v91
	;; [unrolled: 1-line block ×4, first 2 shown]
	global_wb scope:SCOPE_SE
	s_wait_dscnt 0x0
	s_wait_kmcnt 0x0
	s_barrier_signal -1
	s_barrier_wait -1
	global_inv scope:SCOPE_SE
	ds_load_2addr_b32 v[10:11], v91 offset1:55
	ds_load_2addr_b32 v[30:31], v91 offset0:125 offset1:180
	ds_load_2addr_b32 v[24:25], v0 offset0:122 offset1:177
	;; [unrolled: 1-line block ×5, first 2 shown]
	v_add_nc_u32_e32 v0, 0xa00, v91
	v_add_nc_u32_e32 v33, 0xc00, v91
	v_add_nc_u32_e32 v1, 0xe00, v91
	v_add_nc_u32_e32 v34, 0x1000, v91
	v_add_nc_u32_e32 v2, 0x1200, v91
	ds_load_2addr_b32 v[14:15], v0 offset0:110 offset1:165
	ds_load_2addr_b32 v[18:19], v33 offset0:107 offset1:162
	;; [unrolled: 1-line block ×5, first 2 shown]
	v_mov_b32_e32 v0, 0
	s_load_b64 s[0:1], s[0:1], 0x8
                                        ; implicit-def: $vgpr4
                                        ; implicit-def: $vgpr7
                                        ; implicit-def: $vgpr2
                                        ; implicit-def: $vgpr9
                                        ; implicit-def: $vgpr32
	s_and_saveexec_b32 s2, vcc_lo
	s_cbranch_execz .LBB0_5
; %bb.4:
	ds_load_2addr_b32 v[0:1], v91 offset0:110 offset1:235
	ds_load_2addr_b32 v[8:9], v3 offset0:104 offset1:229
	;; [unrolled: 1-line block ×5, first 2 shown]
	ds_load_b32 v32, v91 offset:5440
.LBB0_5:
	s_wait_alu 0xfffe
	s_or_b32 exec_lo, exec_lo, s2
	s_wait_dscnt 0x0
	v_pk_add_f16 v42, v1, v32 neg_lo:[0,1] neg_hi:[0,1]
	v_pk_add_f16 v35, v32, v1
	v_pk_add_f16 v68, v8, v3 neg_lo:[0,1] neg_hi:[0,1]
	v_pk_add_f16 v144, v6, v5 neg_lo:[0,1] neg_hi:[0,1]
	v_pk_add_f16 v55, v5, v6
	v_lshrrev_b32_e32 v34, 16, v42
	v_lshrrev_b32_e32 v38, 16, v35
	v_mul_f16_e32 v39, 0xbbeb, v42
	v_mul_f16_e32 v37, 0xbb47, v42
	;; [unrolled: 1-line block ×5, first 2 shown]
	v_fmamk_f16 v54, v38, 0xb08e, v39
	v_fma_f16 v65, v38, 0xb08e, -v39
	v_lshrrev_b32_e32 v39, 16, v68
	v_pk_add_f16 v46, v3, v8
	v_lshrrev_b32_e32 v61, 16, v55
	v_mul_f16_e64 v66, 0xb853, v144
	v_mul_f16_e32 v33, 0xb853, v34
	v_fma_f16 v43, v38, 0x36a6, -v37
	v_mul_f16_e32 v60, 0xba0c, v34
	v_fmamk_f16 v63, v35, 0x36a6, v36
	v_fma_f16 v64, v35, 0xb08e, -v59
	v_fmamk_f16 v70, v38, 0xb93d, v40
	v_mul_f16_e32 v34, 0xb482, v42
	v_fma_f16 v73, v38, 0xb93d, -v40
	v_mul_f16_e32 v40, 0xba0c, v39
	v_lshrrev_b32_e32 v47, 16, v46
	v_mul_f16_e32 v44, 0xba0c, v68
	v_mul_f16_e32 v74, 0x3482, v39
	v_pk_add_f16 v82, v9, v2 neg_lo:[0,1] neg_hi:[0,1]
	v_fma_f16 v157, 0x3abb, v61, v66
	v_fma_f16 v158, v61, 0x3abb, -v66
	v_lshrrev_b32_e32 v66, 16, v0
	v_fmamk_f16 v53, v35, 0x3abb, v33
	v_fmac_f16_e32 v59, 0xb08e, v35
	v_fmamk_f16 v78, v38, 0xbbad, v34
	v_fma_f16 v75, v38, 0xbbad, -v34
	v_mul_f16_e32 v34, 0xbb47, v39
	v_mul_f16_e32 v41, 0x3482, v68
	v_fmamk_f16 v72, v46, 0xb93d, v40
	v_fma_f16 v76, v47, 0xb93d, -v44
	v_fma_f16 v77, v46, 0xbbad, -v74
	v_mul_f16_e32 v80, 0x3beb, v39
	v_mul_f16_e32 v39, 0x3beb, v68
	v_lshrrev_b32_e32 v45, 16, v82
	v_add_f16_e32 v63, v63, v0
	v_add_f16_e32 v43, v43, v66
	;; [unrolled: 1-line block ×3, first 2 shown]
	v_fma_f16 v69, v35, 0xb93d, -v60
	v_fmamk_f16 v71, v46, 0x36a6, v34
	v_fmamk_f16 v79, v47, 0xbbad, v41
	v_fmac_f16_e32 v74, 0xbbad, v46
	v_fma_f16 v81, v47, 0xbbad, -v41
	v_fmamk_f16 v84, v47, 0xb08e, v39
	v_fma_f16 v86, v47, 0xb08e, -v39
	v_pk_add_f16 v51, v2, v9
	v_mul_f16_e32 v39, 0xbbeb, v45
	v_mul_f16_e32 v41, 0x3482, v45
	v_pk_add_f16 v161, v7, v4 neg_lo:[0,1] neg_hi:[0,1]
	v_add_f16_e32 v53, v53, v0
	v_pk_add_f16 v67, v4, v7
	v_add_f16_e64 v166, v72, v63
	v_add_f16_e32 v43, v76, v43
	v_add_f16_e32 v76, v77, v64
	;; [unrolled: 1-line block ×4, first 2 shown]
	v_pk_mul_f16 v72, 0xb482b853, v42
	v_fma_f16 v83, v46, 0xb08e, -v80
	v_mul_f16_e32 v85, 0x3853, v68
	v_lshrrev_b32_e32 v52, 16, v51
	v_mul_f16_e32 v89, 0x3b47, v45
	v_mul_f16_e32 v48, 0x3b47, v82
	v_fmamk_f16 v90, v51, 0xb08e, v39
	v_fma_f16 v138, 0xbbad, v51, v41
	v_mul_f16_e64 v142, 0xb853, v45
	v_mul_f16_e32 v45, 0xb853, v82
	v_lshrrev_b32_e32 v62, 16, v144
	v_add_f16_e64 v165, v71, v53
	v_lshrrev_b32_e32 v71, 16, v67
	v_add_f16_e32 v65, v69, v0
	v_add_f16_e32 v42, v74, v59
	;; [unrolled: 1-line block ×3, first 2 shown]
	v_pk_fma_f16 v64, 0x3abbbbad, v35, v72 op_sel:[0,0,1] op_sel_hi:[1,1,0] neg_lo:[0,0,1] neg_hi:[0,0,1]
	v_add_f16_e32 v69, v70, v66
	v_pk_mul_f16 v74, 0x3853bb47, v68
	v_add_f16_e32 v68, v73, v66
	v_add_f16_e32 v73, v75, v66
	v_mul_f16_e64 v75, 0x3b47, v161
	v_fmac_f16_e32 v60, 0xb93d, v35
	v_fma_f16 v140, v51, 0x36a6, -v89
	v_fma_f16 v141, 0x36a6, v52, v48
	v_fma_f16 v143, v52, 0x36a6, -v48
	v_fma_f16 v145, v51, 0x3abb, -v142
	v_fma_f16 v146, 0x3abb, v52, v45
	v_fma_f16 v148, v52, 0x3abb, -v45
	v_mul_f16_e32 v45, 0xba0c, v62
	v_mul_f16_e32 v48, 0x3beb, v62
	v_mul_f16_e64 v151, 0xb853, v62
	v_mul_f16_e64 v156, 0xb482, v62
	;; [unrolled: 1-line block ×3, first 2 shown]
	v_add_f16_e32 v65, v83, v65
	v_pk_add_f16 v64, v64, v0
	v_add_f16_e32 v69, v84, v69
	v_pk_fma_f16 v70, 0x36a63abb, v46, v74 op_sel:[0,0,1] op_sel_hi:[1,1,0] neg_lo:[0,0,1] neg_hi:[0,0,1]
	v_add_f16_e32 v81, v86, v68
	v_add_f16_e64 v84, v90, v165
	v_add_f16_e64 v86, v138, v166
	v_fma_f16 v165, 0x36a6, v71, v75
	v_fma_f16 v166, v71, 0x36a6, -v75
	v_pk_mul_f16 v75, 0xba0cbbeb, v82
	v_fmac_f16_e32 v80, 0xb08e, v46
	v_fma_f16 v88, v47, 0x3abb, -v85
	v_mul_f16_e32 v49, 0x3482, v82
	v_mul_f16_e64 v147, 0xba0c, v82
	v_fma_f16 v155, v55, 0x3abb, -v151
	v_fma_f16 v160, 0xbbad, v61, v62
	v_fma_f16 v162, v61, 0xbbad, -v62
	v_lshrrev_b32_e32 v62, 16, v161
	v_add_f16_e32 v60, v60, v0
	v_pk_add_f16 v70, v70, v64
	v_add_f16_e64 v76, v140, v76
	v_add_f16_e64 v82, v145, v65
	v_pk_fma_f16 v65, 0xb08eb93d, v51, v75 op_sel:[0,0,1] op_sel_hi:[1,1,0] neg_lo:[0,0,1] neg_hi:[0,0,1]
	v_fma_f16 v139, v52, 0xbbad, -v49
	v_fmac_f16_e64 v142, 0x3abb, v51
	v_fma_f16 v150, v52, 0xb93d, -v147
	v_mul_f16_e64 v50, 0x3beb, v144
	v_fma_f16 v152, 0xb93d, v55, v45
	v_mul_f16_e64 v164, 0x3b47, v144
	v_mul_f16_e32 v53, 0xb482, v62
	v_add_f16_e32 v63, v54, v66
	v_add_f16_e32 v60, v80, v60
	v_mul_f16_e64 v68, 0xba0c, v161
	v_add_f16_e32 v73, v88, v73
	v_add_f16_e64 v59, v143, v59
	v_pk_add_f16 v70, v65, v70
	v_add_f16_e64 v65, v155, v76
	v_pk_mul_f16 v76, 0x3b47ba0c, v144
	v_mul_f16_e32 v87, 0x3abb, v47
	v_fmac_f16_e32 v89, 0x36a6, v51
	v_fma_f16 v153, 0xb08e, v55, v48
	v_fma_f16 v154, v61, 0xb08e, -v50
	v_fma_f16 v167, v61, 0x36a6, -v164
	v_fma_f16 v168, 0xbbad, v67, v53
	v_mul_f16_e32 v54, 0x3853, v62
	v_add_f16_e32 v77, v79, v63
	v_mul_f16_e64 v63, 0x3853, v161
	v_fmamk_f16 v88, v71, 0xb93d, v68
	v_fma_f16 v90, v71, 0xb93d, -v68
	v_add_f16_e64 v43, v139, v43
	v_pk_fma_f16 v139, 0x3abbbbad, v35, v72 op_sel:[0,0,1] op_sel_hi:[1,1,0]
	v_pk_mul_f16 v68, 0x36a63abb, v46
	v_add_f16_e64 v60, v142, v60
	v_add_f16_e64 v138, v150, v73
	;; [unrolled: 1-line block ×4, first 2 shown]
	v_pk_fma_f16 v59, 0xb93d36a6, v55, v76 op_sel:[0,0,1] op_sel_hi:[1,1,0] neg_lo:[0,0,1] neg_hi:[0,0,1]
	v_mul_f16_e64 v149, 0xb93d, v52
	v_fmac_f16_e64 v151, 0x3abb, v55
	v_fma_f16 v159, v55, 0xbbad, -v156
	v_fmac_f16_e64 v156, 0xbbad, v55
	v_fmamk_f16 v79, v67, 0x3abb, v54
	v_mul_f16_e32 v80, 0xba0c, v62
	v_fma_f16 v83, v71, 0x3abb, -v63
	v_add_f16_e32 v42, v89, v42
	v_add_f16_e64 v89, v146, v69
	v_pk_mul_f16 v69, 0xb08eb93d, v51
	v_add_f16_e64 v86, v153, v86
	v_add_f16_e64 v43, v154, v43
	v_pk_add_f16 v144, v59, v70
	v_add_f16_e64 v150, v167, v138
	v_add_f16_e64 v138, v168, v84
	v_pack_b32_f16 v59, v85, v139
	v_perm_b32 v84, v0, v87, 0x5040100
	v_pack_b32_f16 v78, v78, v68
	v_perm_b32 v85, v74, v0, 0x7060302
	v_mul_f16_e64 v163, 0x36a6, v61
	v_fma_f16 v64, v67, 0xb93d, -v80
	v_fmac_f16_e32 v80, 0xb93d, v67
	v_add_f16_e64 v81, v148, v81
	v_add_f16_e64 v42, v151, v42
	v_add_f16_e64 v148, v156, v60
	v_pk_mul_f16 v73, 0xb93d36a6, v55
	v_add_f16_e32 v60, v79, v86
	v_add_f16_e64 v139, v83, v43
	v_pk_add_f16 v43, v59, v84
	v_pk_add_f16 v78, v78, v85
	v_pack_b32_f16 v79, v147, v69
	v_bfi_b32 v83, 0xffff, v149, v75
	v_add_f16_e64 v77, v141, v77
	v_add_f16_e32 v59, v80, v42
	v_pk_add_f16 v42, v78, v43
	v_pack_b32_f16 v78, v164, v73
	v_pk_add_f16 v43, v79, v83
	v_bfi_b32 v79, 0xffff, v163, v76
	v_add_f16_e64 v140, v157, v77
	v_add_f16_e64 v81, v162, v81
	v_pk_mul_f16 v70, 0xbbadb08e, v67
	v_pk_mul_f16 v77, 0xbbebb482, v161
	v_mul_f16_e64 v80, 0xbbeb, v161
	v_mul_f16_e32 v83, 0xb08e, v71
	v_pk_add_f16 v42, v43, v42
	v_pk_add_f16 v43, v78, v79
	v_pk_add_f16 v79, v30, v28 neg_lo:[0,1] neg_hi:[0,1]
	v_pack_b32_f16 v78, v80, v70
	v_bfi_b32 v83, 0xffff, v83, v77
	v_add_f16_e64 v143, v166, v81
	v_pk_add_f16 v81, v28, v30
	v_pk_add_f16 v42, v43, v42
	v_lshrrev_b32_e32 v43, 16, v79
	v_pk_add_f16 v151, v24, v26 neg_lo:[0,1] neg_hi:[0,1]
	v_pk_fma_f16 v87, 0xbbadb08e, v67, v77 op_sel:[0,0,1] op_sel_hi:[1,1,0] neg_lo:[0,0,1] neg_hi:[0,0,1]
	v_pk_add_f16 v78, v78, v83
	v_fma_f16 v80, v71, 0xb08e, -v80
	v_pk_mul_f16 v83, 0x3abb36a6, v81
	v_mul_f16_e32 v84, 0xb853, v43
	v_pk_add_f16 v152, v26, v24
	v_lshrrev_b32_e32 v155, 16, v151
	v_add_f16_e64 v89, v160, v89
	v_add_f16_e64 v141, v88, v140
	;; [unrolled: 1-line block ×3, first 2 shown]
	v_pk_add_f16 v146, v87, v144
	v_pk_add_f16 v145, v78, v42
	v_add_f16_e64 v144, v80, v150
	v_pk_fma_f16 v42, 0xbb47b853, v79, v83 op_sel:[0,0,1] op_sel_hi:[1,1,0] neg_lo:[0,1,0] neg_hi:[0,1,0]
	v_pk_fma_f16 v78, 0xbb47b853, v79, v83 op_sel:[0,0,1] op_sel_hi:[1,1,0]
	v_fma_f16 v80, v81, 0x3abb, -v84
	v_lshrrev_b32_e32 v83, 16, v81
	v_mul_f16_e32 v85, 0xbb47, v79
	v_fmac_f16_e32 v84, 0x3abb, v81
	v_mul_f16_e32 v90, 0xbbeb, v79
	v_mul_f16_e64 v150, 0xba0c, v79
	v_pk_mul_f16 v156, 0x36a6b93d, v152
	v_mul_f16_e64 v157, 0xbb47, v155
	v_add_f16_e64 v142, v165, v89
	v_bfi_b32 v86, 0xffff, v78, v42
	v_add_f16_e32 v80, v10, v80
	v_lshrrev_b32_e32 v87, 16, v10
	v_fmamk_f16 v88, v83, 0x36a6, v85
	v_add_f16_e32 v84, v10, v84
	v_mul_f16_e32 v89, 0xbbeb, v43
	v_fma_f16 v85, v83, 0x36a6, -v85
	v_fma_f16 v149, 0xb08e, v83, v90
	v_fma_f16 v90, v83, 0xb08e, -v90
	v_fma_f16 v154, 0xb93d, v83, v150
	v_pk_fma_f16 v158, 0xba0cbb47, v151, v156 op_sel:[0,0,1] op_sel_hi:[1,1,0] neg_lo:[0,1,0] neg_hi:[0,1,0]
	v_pk_fma_f16 v156, 0xba0cbb47, v151, v156 op_sel:[0,0,1] op_sel_hi:[1,1,0]
	v_fma_f16 v83, v83, 0xb93d, -v150
	v_fma_f16 v150, v152, 0x36a6, -v157
	v_fmac_f16_e64 v157, 0x36a6, v152
	v_lshrrev_b32_e32 v160, 16, v152
	v_mul_f16_e64 v161, 0xba0c, v151
	v_add_f16_e64 v82, v159, v82
	v_pk_add_f16 v86, v10, v86 op_sel:[1,0] op_sel_hi:[0,1]
	v_add_f16_e32 v88, v87, v88
	s_wait_kmcnt 0x0
	v_alignbit_b32 v78, s0, v78, 16
	v_fma_f16 v147, v81, 0xb08e, -v89
	v_bfi_b32 v159, 0xffff, v156, v158
	v_add_f16_e64 v80, v150, v80
	v_add_f16_e64 v84, v157, v84
	v_fma_f16 v150, 0xb93d, v160, v161
	v_mul_f16_e64 v157, 0x3482, v155
	v_fmac_f16_e32 v89, 0xb08e, v81
	v_pk_add_f16 v78, v10, v78
	v_add_f16_e64 v147, v10, v147
	v_mul_f16_e32 v43, 0xba0c, v43
	v_pk_add_f16 v86, v159, v86
	v_alignbit_b32 v156, s0, v156, 16
	v_mul_f16_e64 v159, 0x3482, v151
	v_add_f16_e64 v88, v150, v88
	v_fma_f16 v150, v152, 0xbbad, -v157
	v_add_f16_e64 v149, v87, v149
	v_add_f16_e32 v89, v10, v89
	v_fma_f16 v153, v81, 0xb93d, -v43
	v_add_f16_e32 v90, v87, v90
	v_pk_add_f16 v78, v156, v78
	v_fma_f16 v156, 0xbbad, v160, v159
	v_mul_f16_e64 v155, 0x3beb, v155
	v_fmac_f16_e64 v157, 0xbbad, v152
	v_add_f16_e64 v147, v150, v147
	v_fma_f16 v150, v160, 0xbbad, -v159
	v_add_f16_e32 v85, v87, v85
	v_add_f16_e64 v153, v10, v153
	v_fmac_f16_e32 v43, 0xb93d, v81
	v_fma_f16 v161, v160, 0xb93d, -v161
	v_add_f16_e64 v149, v156, v149
	v_fma_f16 v156, v152, 0xb08e, -v155
	v_add_f16_e64 v89, v157, v89
	v_pk_add_f16 v157, v20, v22 neg_lo:[0,1] neg_hi:[0,1]
	v_mul_f16_e64 v159, 0x3beb, v151
	v_add_f16_e64 v90, v150, v90
	v_pk_add_f16 v150, v22, v20
	v_add_f16_e64 v154, v87, v154
	v_add_f16_e32 v43, v10, v43
	v_add_f16_e64 v85, v161, v85
	v_add_f16_e64 v153, v156, v153
	v_lshrrev_b32_e32 v156, 16, v157
	v_fma_f16 v161, 0xb08e, v160, v159
	v_fmac_f16_e64 v155, 0xb08e, v152
	v_pk_mul_f16 v162, 0xb08ebbad, v150
	v_add_f16_e32 v83, v87, v83
	v_fma_f16 v159, v160, 0xb08e, -v159
	v_mul_f16_e64 v160, 0xbbeb, v156
	v_add_f16_e64 v154, v161, v154
	v_add_f16_e64 v43, v155, v43
	v_pk_fma_f16 v155, 0x3482bbeb, v157, v162 op_sel:[0,0,1] op_sel_hi:[1,1,0] neg_lo:[0,1,0] neg_hi:[0,1,0]
	v_pk_fma_f16 v161, 0x3482bbeb, v157, v162 op_sel:[0,0,1] op_sel_hi:[1,1,0]
	v_fma_f16 v162, v150, 0xb08e, -v160
	v_fmac_f16_e64 v160, 0xb08e, v150
	v_lshrrev_b32_e32 v163, 16, v150
	v_mul_f16_e64 v164, 0x3482, v157
	v_add_f16_e64 v83, v159, v83
	v_bfi_b32 v159, 0xffff, v161, v155
	v_add_f16_e64 v80, v162, v80
	v_add_f16_e64 v84, v160, v84
	v_fma_f16 v160, 0xbbad, v163, v164
	v_mul_f16_e64 v162, 0x3b47, v156
	v_pk_add_f16 v86, v159, v86
	v_mul_f16_e64 v159, 0x3b47, v157
	v_alignbit_b32 v161, s0, v161, 16
	v_fma_f16 v164, v163, 0xbbad, -v164
	v_fma_f16 v165, v150, 0x36a6, -v162
	v_add_f16_e64 v88, v160, v88
	v_fma_f16 v160, 0x36a6, v163, v159
	v_pk_add_f16 v78, v161, v78
	v_mul_f16_e64 v156, 0xb853, v156
	v_pk_add_f16 v161, v16, v18 neg_lo:[0,1] neg_hi:[0,1]
	v_add_f16_e64 v85, v164, v85
	v_add_f16_e64 v147, v165, v147
	;; [unrolled: 1-line block ×3, first 2 shown]
	v_fmac_f16_e64 v162, 0x36a6, v150
	v_mul_f16_e64 v160, 0xb853, v157
	v_fma_f16 v159, v163, 0x36a6, -v159
	v_fma_f16 v164, v150, 0x3abb, -v156
	v_lshrrev_b32_e32 v165, 16, v161
	v_pk_add_f16 v166, v18, v16
	v_add_f16_e64 v89, v162, v89
	v_fma_f16 v162, 0x3abb, v163, v160
	v_add_f16_e64 v90, v159, v90
	v_add_f16_e64 v153, v164, v153
	v_fmac_f16_e64 v156, 0x3abb, v150
	v_mul_f16_e64 v159, 0xba0c, v165
	v_pk_mul_f16 v164, 0xb93db08e, v166
	v_add_f16_e64 v154, v162, v154
	v_fma_f16 v160, v163, 0x3abb, -v160
	v_add_f16_e64 v43, v156, v43
	v_fma_f16 v156, v166, 0xb93d, -v159
	v_pk_fma_f16 v162, 0x3bebba0c, v161, v164 op_sel:[0,0,1] op_sel_hi:[1,1,0] neg_lo:[0,1,0] neg_hi:[0,1,0]
	v_pk_fma_f16 v163, 0x3bebba0c, v161, v164 op_sel:[0,0,1] op_sel_hi:[1,1,0]
	v_fmac_f16_e64 v159, 0xb93d, v166
	v_lshrrev_b32_e32 v164, 16, v166
	v_mul_f16_e64 v167, 0x3beb, v161
	v_add_f16_e64 v83, v160, v83
	v_add_f16_e64 v80, v156, v80
	v_bfi_b32 v156, 0xffff, v163, v162
	v_add_f16_e64 v84, v159, v84
	v_fma_f16 v159, 0xb08e, v164, v167
	v_fma_f16 v160, v164, 0xb08e, -v167
	v_mul_f16_e64 v167, 0xb853, v165
	v_pk_add_f16 v86, v156, v86
	v_mul_f16_e64 v156, 0xb853, v161
	v_add_f16_e64 v88, v159, v88
	v_add_f16_e64 v85, v160, v85
	v_fma_f16 v159, v166, 0x3abb, -v167
	v_mul_f16_e64 v160, 0xb482, v165
	v_fma_f16 v165, 0x3abb, v164, v156
	v_mul_f16_e64 v168, 0xb482, v161
	v_fmac_f16_e64 v167, 0x3abb, v166
	v_add_f16_e64 v147, v159, v147
	v_fma_f16 v159, v166, 0xbbad, -v160
	v_add_f16_e64 v149, v165, v149
	v_fma_f16 v165, 0xbbad, v164, v168
	v_add_f16_e64 v89, v167, v89
	v_pk_add_f16 v167, v12, v14 neg_lo:[0,1] neg_hi:[0,1]
	v_add_f16_e64 v153, v159, v153
	v_fmac_f16_e64 v160, 0xbbad, v166
	v_add_f16_e32 v42, v87, v42
	v_pk_add_f16 v159, v14, v12
	v_add_f16_e64 v154, v165, v154
	v_lshrrev_b32_e32 v87, 16, v167
	v_add_f16_e64 v43, v160, v43
	v_fma_f16 v160, v164, 0xbbad, -v168
	v_add_f16_e64 v42, v158, v42
	v_pk_mul_f16 v165, 0xbbad3abb, v159
	v_mul_f16_e64 v158, 0xb482, v87
	v_fma_f16 v156, v164, 0x3abb, -v156
	v_add_f16_e64 v83, v160, v83
	v_add_f16_e64 v42, v155, v42
	v_pk_fma_f16 v160, 0x3853b482, v167, v165 op_sel:[0,0,1] op_sel_hi:[1,1,0] neg_lo:[0,1,0] neg_hi:[0,1,0]
	v_pk_fma_f16 v164, 0x3853b482, v167, v165 op_sel:[0,0,1] op_sel_hi:[1,1,0]
	v_fma_f16 v155, v159, 0xbbad, -v158
	v_fmac_f16_e64 v158, 0xbbad, v159
	v_add_f16_e64 v42, v162, v42
	v_lshrrev_b32_e32 v162, 16, v159
	v_mul_f16_e64 v168, 0x3853, v167
	v_bfi_b32 v164, 0xffff, v164, v160
	v_add_f16_e64 v80, v155, v80
	v_add_f16_e64 v84, v158, v84
	;; [unrolled: 1-line block ×3, first 2 shown]
	v_fma_f16 v42, 0x3abb, v162, v168
	v_pk_add_f16 v86, v164, v86
	v_fma_f16 v158, v162, 0x3abb, -v168
	v_mul_f16_e64 v160, 0xba0c, v87
	v_mul_f16_e64 v164, 0xb93d, v162
	v_mul_f16_e32 v87, 0x3b47, v87
	v_pk_add_f16 v30, v10, v30
	v_add_f16_e32 v42, v42, v88
	v_add_f16_e64 v85, v158, v85
	v_fma_f16 v88, v159, 0xb93d, -v160
	v_fma_f16 v158, 0xba0c, v167, v164
	v_fma_f16 v168, v159, 0x36a6, -v87
	v_mul_f16_e64 v169, 0x3b47, v167
	v_pk_add_f16 v24, v30, v24
	v_add_f16_e64 v88, v88, v147
	v_add_f16_e64 v147, v158, v149
	;; [unrolled: 1-line block ×3, first 2 shown]
	v_fma_f16 v153, 0x36a6, v162, v169
	v_fmac_f16_e64 v87, 0x36a6, v159
	v_fma_f16 v158, v162, 0x36a6, -v169
	v_pk_mul_f16 v81, 0xbbad, v81 op_sel_hi:[0,1]
	v_pk_add_f16 v20, v24, v20
	v_add_f16_e64 v153, v153, v154
	v_add_f16_e32 v87, v87, v43
	v_add_f16_e64 v30, v158, v83
	v_pk_fma_f16 v43, 0xb482, v79, v81 op_sel:[0,0,1] op_sel_hi:[0,1,0] neg_lo:[0,1,0] neg_hi:[0,1,0]
	v_alignbit_b32 v83, v42, v86, 16
	v_pk_mul_f16 v42, 0x3abb, v152 op_sel_hi:[0,1]
	v_pk_add_f16 v16, v20, v16
	v_pack_b32_f16 v80, v80, v86
	v_pack_b32_f16 v86, v149, v153
	v_alignbit_b32 v149, s0, v43, 16
	v_pack_b32_f16 v88, v88, v147
	v_pk_fma_f16 v147, 0x3853, v151, v42 op_sel:[0,0,1] op_sel_hi:[0,1,0] neg_lo:[0,1,0] neg_hi:[0,1,0]
	v_pk_add_f16 v12, v16, v12
	v_alignbit_b32 v152, s0, v10, 16
	v_pk_add_f16 v24, v10, v149
	v_pk_fma_f16 v79, 0xb482, v79, v81 op_sel:[0,0,1] op_sel_hi:[0,1,0]
	v_alignbit_b32 v149, s0, v147, 16
	v_pk_mul_f16 v150, 0xb93d, v150 op_sel_hi:[0,1]
	v_pk_add_f16 v12, v12, v14
	v_pk_add_f16 v81, v152, v43
	v_mul_f16_e32 v62, 0x3b47, v62
	v_pk_add_f16 v10, v10, v79 op_sel:[1,0] op_sel_hi:[0,1]
	v_pk_add_f16 v20, v149, v24
	v_pk_fma_f16 v24, 0x3853, v151, v42 op_sel:[0,0,1] op_sel_hi:[0,1,0]
	v_pk_fma_f16 v79, 0xba0c, v157, v150 op_sel:[0,0,1] op_sel_hi:[0,1,0] neg_lo:[0,1,0] neg_hi:[0,1,0]
	v_pk_add_f16 v12, v12, v18
	v_pk_add_f16 v16, v147, v81
	v_fma_f16 v81, v67, 0x36a6, -v62
	v_pk_add_f16 v10, v24, v10
	v_alignbit_b32 v24, s0, v79, 16
	v_pk_add_f16 v12, v12, v22
	v_add_f16_e32 v64, v64, v65
	v_add_f16_e32 v65, v81, v82
	v_pk_fma_f16 v14, 0xba0c, v157, v150 op_sel:[0,0,1] op_sel_hi:[0,1,0]
	v_mul_lo_u16 v18, v128, 11
	v_pk_mul_f16 v81, 0x36a6, v166 op_sel_hi:[0,1]
	v_pk_add_f16 v20, v24, v20
	v_pk_add_f16 v24, v11, v31
	v_pk_add_f16 v12, v12, v26
	v_and_b32_e32 v18, 0xffff, v18
	v_pk_add_f16 v10, v14, v10
	v_pk_fma_f16 v14, 0x3b47, v161, v81 op_sel:[0,0,1] op_sel_hi:[0,1,0] neg_lo:[0,1,0] neg_hi:[0,1,0]
	v_pk_add_f16 v16, v79, v16
	v_pk_add_f16 v12, v12, v28
	v_pk_mul_f16 v28, 0xb08e, v159 op_sel_hi:[0,1]
	v_pk_add_f16 v24, v24, v25
	v_lshlrev_b32_e32 v193, 2, v18
	v_alignbit_b32 v18, s0, v14, 16
	v_pk_fma_f16 v22, 0x3b47, v161, v81 op_sel:[0,0,1] op_sel_hi:[0,1,0]
	v_pk_add_f16 v14, v14, v16
	v_pk_fma_f16 v16, 0xbbeb, v167, v28 op_sel:[0,0,1] op_sel_hi:[0,1,0] neg_lo:[0,1,0] neg_hi:[0,1,0]
	v_pk_add_f16 v24, v24, v21
	v_pk_mul_f16 v26, 0x3853b482, v167
	v_pk_add_f16 v18, v18, v20
	v_mul_f16_e64 v20, 0xba0c, v167
	v_pk_add_f16 v10, v22, v10
	v_pk_fma_f16 v22, 0xbbeb, v167, v28 op_sel:[0,0,1] op_sel_hi:[0,1,0]
	v_lshlrev_b32_e32 v28, 16, v78
	v_alignbit_b32 v79, s0, v16, 16
	v_pk_add_f16 v24, v24, v17
	v_pack_b32_f16 v78, v156, v165
	v_bfi_b32 v26, 0xffff, v90, v26
	v_pk_add_f16 v20, v164, v20 neg_lo:[0,1] neg_hi:[0,1]
	v_pk_add_f16 v28, v163, v28
	v_pk_add_f16 v14, v16, v14
	;; [unrolled: 1-line block ×3, first 2 shown]
	v_pack_b32_f16 v18, v87, v30
	v_pk_add_f16 v24, v24, v13
	v_fmac_f16_e64 v160, 0xb93d, v159
	v_pk_add_f16 v10, v22, v10
	v_pk_add_f16 v22, v78, v26
	v_bfi_b32 v20, 0xffff, v20, v28
	global_wb scope:SCOPE_SE
	s_barrier_signal -1
	s_barrier_wait -1
	global_inv scope:SCOPE_SE
	ds_store_2addr_b32 v193, v12, v18 offset1:7
	v_pk_add_f16 v12, v24, v15
	v_add_f16_e64 v89, v160, v89
	v_pk_add_f16 v20, v20, v22
	v_pk_add_f16 v18, v31, v29 neg_lo:[0,1] neg_hi:[0,1]
	v_alignbit_b32 v14, v14, v10, 16
	v_pk_add_f16 v12, v12, v19
	v_pack_b32_f16 v10, v16, v10
	v_alignbit_b32 v16, v85, v20, 16
	v_pack_b32_f16 v20, v89, v20
	v_pack_b32_f16 v22, v84, v155
	v_lshrrev_b32_e32 v26, 16, v18
	ds_store_2addr_b32 v193, v80, v83 offset0:1 offset1:2
	ds_store_2addr_b32 v193, v88, v86 offset0:3 offset1:4
	ds_store_2addr_b32 v193, v10, v14 offset0:5 offset1:6
	ds_store_2addr_b32 v193, v20, v16 offset0:8 offset1:9
	v_pk_add_f16 v10, v12, v23
	v_pk_add_f16 v84, v25, v27 neg_lo:[0,1] neg_hi:[0,1]
	v_add_co_u32 v43, s2, v128, 55
	v_pk_add_f16 v24, v29, v31
	v_mul_f16_e32 v12, 0xb853, v26
	v_pk_add_f16 v10, v10, v27
	v_lshrrev_b32_e32 v86, 16, v84
	v_mul_u32_u24_e32 v16, 11, v43
	v_pk_mul_f16 v14, 0x3abb36a6, v24
	v_fma_f16 v20, v24, 0x3abb, -v12
	v_pk_add_f16 v10, v10, v29
	v_lshrrev_b32_e32 v28, 16, v24
	v_mul_f16_e32 v29, 0xbb47, v18
	v_pk_add_f16 v25, v27, v25
	v_mul_f16_e32 v88, 0xbb47, v86
	ds_store_b32 v193, v22 offset:40
	v_pk_fma_f16 v22, 0xbb47b853, v18, v14 op_sel:[0,0,1] op_sel_hi:[1,1,0] neg_lo:[0,1,0] neg_hi:[0,1,0]
	v_pk_fma_f16 v14, 0xbb47b853, v18, v14 op_sel:[0,0,1] op_sel_hi:[1,1,0]
	v_lshlrev_b32_e32 v169, 2, v16
	v_fmac_f16_e32 v12, 0x3abb, v24
	v_add_f16_e32 v16, v11, v20
	v_lshrrev_b32_e32 v30, 16, v11
	v_fmamk_f16 v78, v28, 0x36a6, v29
	v_mul_f16_e32 v80, 0xbbeb, v18
	v_mul_f16_e32 v83, 0xba0c, v18
	v_pk_mul_f16 v87, 0x36a6b93d, v25
	v_fma_f16 v89, v25, 0x36a6, -v88
	v_lshrrev_b32_e32 v90, 16, v25
	v_mul_f16_e64 v147, 0xba0c, v84
	v_fmac_f16_e32 v62, 0x36a6, v67
	v_bfi_b32 v20, 0xffff, v14, v22
	v_add_f16_e32 v12, v11, v12
	v_mul_f16_e32 v79, 0xbbeb, v26
	v_fma_f16 v29, v28, 0x36a6, -v29
	v_add_f16_e32 v78, v30, v78
	v_fmamk_f16 v82, v28, 0xb08e, v80
	v_fma_f16 v80, v28, 0xb08e, -v80
	v_fmamk_f16 v27, v28, 0xb93d, v83
	v_fma_f16 v28, v28, 0xb93d, -v83
	v_pk_fma_f16 v83, 0xba0cbb47, v84, v87 op_sel:[0,0,1] op_sel_hi:[1,1,0] neg_lo:[0,1,0] neg_hi:[0,1,0]
	v_pk_fma_f16 v87, 0xba0cbb47, v84, v87 op_sel:[0,0,1] op_sel_hi:[1,1,0]
	v_fmac_f16_e32 v88, 0x36a6, v25
	v_add_f16_e32 v16, v89, v16
	v_fma_f16 v89, 0xb93d, v90, v147
	v_add_f16_e64 v62, v62, v148
	v_pk_add_f16 v20, v11, v20 op_sel:[1,0] op_sel_hi:[0,1]
	v_alignbit_b32 v14, s0, v14, 16
	v_fma_f16 v81, v24, 0xb08e, -v79
	v_add_f16_e32 v29, v30, v29
	v_fmac_f16_e32 v79, 0xb08e, v24
	v_mul_f16_e32 v26, 0xba0c, v26
	v_bfi_b32 v148, 0xffff, v87, v83
	v_add_f16_e32 v12, v88, v12
	v_mul_f16_e32 v88, 0x3482, v86
	v_add_f16_e32 v78, v89, v78
	v_fma_f16 v89, v90, 0xb93d, -v147
	v_pk_add_f16 v14, v11, v14
	v_add_f16_e32 v81, v11, v81
	v_add_f16_e32 v79, v11, v79
	v_fma_f16 v85, v24, 0xb93d, -v26
	v_pk_add_f16 v20, v148, v20
	v_mul_f16_e64 v148, 0x3482, v84
	v_alignbit_b32 v87, s0, v87, 16
	v_fma_f16 v147, v25, 0xbbad, -v88
	v_fmac_f16_e32 v88, 0xbbad, v25
	v_add_f16_e32 v29, v89, v29
	v_mul_f16_e32 v86, 0x3beb, v86
	v_pk_add_f16 v89, v21, v23 neg_lo:[0,1] neg_hi:[0,1]
	v_add_f16_e32 v80, v30, v80
	v_fmac_f16_e32 v26, 0xb93d, v24
	v_add_f16_e32 v85, v11, v85
	v_pk_add_f16 v14, v87, v14
	v_add_f16_e64 v81, v147, v81
	v_add_f16_e32 v79, v88, v79
	v_fma_f16 v87, v90, 0xbbad, -v148
	v_mul_f16_e32 v88, 0x3beb, v84
	v_pk_add_f16 v21, v23, v21
	v_fma_f16 v23, v25, 0xb08e, -v86
	v_lshrrev_b32_e32 v147, 16, v89
	v_add_f16_e32 v82, v30, v82
	v_add_f16_e32 v27, v30, v27
	v_add_f16_e32 v26, v11, v26
	v_fma_f16 v149, 0xbbad, v90, v148
	v_add_f16_e32 v80, v87, v80
	v_fmamk_f16 v87, v90, 0xb08e, v88
	v_pk_mul_f16 v148, 0xb08ebbad, v21
	v_add_f16_e32 v23, v23, v85
	v_fmac_f16_e32 v86, 0xb08e, v25
	v_mul_f16_e64 v85, 0xbbeb, v147
	v_add_f16_e32 v28, v30, v28
	v_add_f16_e64 v82, v149, v82
	v_add_f16_e32 v27, v87, v27
	v_pk_fma_f16 v87, 0x3482bbeb, v89, v148 op_sel:[0,0,1] op_sel_hi:[1,1,0] neg_lo:[0,1,0] neg_hi:[0,1,0]
	v_pk_fma_f16 v148, 0x3482bbeb, v89, v148 op_sel:[0,0,1] op_sel_hi:[1,1,0]
	v_add_f16_e32 v26, v86, v26
	v_fma_f16 v86, v90, 0xb08e, -v88
	v_fma_f16 v88, v21, 0xb08e, -v85
	v_fmac_f16_e32 v85, 0xb08e, v21
	v_lshrrev_b32_e32 v149, 16, v21
	v_mul_f16_e64 v150, 0x3482, v89
	v_bfi_b32 v90, 0xffff, v148, v87
	v_add_f16_e32 v28, v86, v28
	v_add_f16_e32 v12, v85, v12
	v_mul_f16_e64 v86, 0x3b47, v147
	v_fma_f16 v85, 0xbbad, v149, v150
	v_add_f16_e32 v16, v88, v16
	v_pk_add_f16 v20, v90, v20
	v_alignbit_b32 v88, s0, v148, 16
	v_mul_f16_e32 v90, 0x3b47, v89
	v_add_f16_e32 v78, v85, v78
	v_fma_f16 v85, v21, 0x36a6, -v86
	v_mul_f16_e64 v147, 0xb853, v147
	v_pk_add_f16 v14, v88, v14
	v_fma_f16 v88, 0x36a6, v149, v90
	v_fmac_f16_e32 v86, 0x36a6, v21
	v_add_f16_e32 v81, v85, v81
	v_fma_f16 v85, v149, 0x36a6, -v90
	v_pk_add_f16 v90, v17, v19 neg_lo:[0,1] neg_hi:[0,1]
	v_fma_f16 v148, v149, 0xbbad, -v150
	v_add_f16_e32 v82, v88, v82
	v_fma_f16 v88, v21, 0x3abb, -v147
	v_add_f16_e32 v79, v86, v79
	v_mul_f16_e32 v86, 0xb853, v89
	v_add_f16_e32 v80, v85, v80
	v_lshrrev_b32_e32 v85, 16, v90
	v_pk_add_f16 v17, v19, v17
	v_add_f16_e64 v29, v148, v29
	v_add_f16_e32 v23, v88, v23
	v_fma_f16 v19, 0x3abb, v149, v86
	v_fmac_f16_e64 v147, 0x3abb, v21
	v_fma_f16 v86, v149, 0x3abb, -v86
	v_mul_f16_e32 v88, 0xba0c, v85
	v_pk_mul_f16 v148, 0xb93db08e, v17
	v_add_f16_e32 v19, v19, v27
	v_add_f16_e64 v26, v147, v26
	v_add_f16_e32 v27, v86, v28
	v_fma_f16 v28, v17, 0xb93d, -v88
	v_pk_fma_f16 v86, 0x3bebba0c, v90, v148 op_sel:[0,0,1] op_sel_hi:[1,1,0] neg_lo:[0,1,0] neg_hi:[0,1,0]
	v_pk_fma_f16 v147, 0x3bebba0c, v90, v148 op_sel:[0,0,1] op_sel_hi:[1,1,0]
	v_fmac_f16_e32 v88, 0xb93d, v17
	v_lshrrev_b32_e32 v148, 16, v17
	v_mul_f16_e64 v149, 0x3beb, v90
	v_add_f16_e32 v16, v28, v16
	v_bfi_b32 v28, 0xffff, v147, v86
	v_add_f16_e32 v12, v88, v12
	v_mul_f16_e32 v88, 0xb853, v85
	v_fma_f16 v150, 0xb08e, v148, v149
	v_mul_f16_e64 v151, 0xb853, v90
	v_pk_add_f16 v20, v28, v20
	v_fma_f16 v28, v148, 0xb08e, -v149
	v_fma_f16 v149, v17, 0x3abb, -v88
	v_add_f16_e64 v78, v150, v78
	v_fma_f16 v150, 0x3abb, v148, v151
	v_mul_f16_e32 v85, 0xb482, v85
	v_add_f16_e32 v28, v28, v29
	v_add_f16_e64 v29, v149, v81
	v_pk_add_f16 v149, v13, v15 neg_lo:[0,1] neg_hi:[0,1]
	v_add_f16_e64 v81, v150, v82
	v_fma_f16 v82, v17, 0xbbad, -v85
	v_add_f16_e32 v22, v30, v22
	v_mul_f16_e64 v150, 0xb482, v90
	v_fmac_f16_e32 v85, 0xbbad, v17
	v_pk_add_f16 v13, v15, v13
	v_add_f16_e32 v23, v82, v23
	v_lshrrev_b32_e32 v82, 16, v149
	v_add_f16_e32 v22, v83, v22
	v_add_f16_e32 v26, v85, v26
	v_fma_f16 v30, v148, 0xbbad, -v150
	v_pk_mul_f16 v85, 0xbbad3abb, v13
	v_mul_f16_e32 v15, 0xb482, v82
	v_add_f16_e32 v22, v87, v22
	v_fmac_f16_e32 v88, 0x3abb, v17
	v_add_f16_e32 v27, v30, v27
	v_pk_fma_f16 v30, 0x3853b482, v149, v85 op_sel:[0,0,1] op_sel_hi:[1,1,0]
	v_fma_f16 v83, v13, 0xbbad, -v15
	v_fmac_f16_e32 v15, 0xbbad, v13
	v_add_f16_e32 v22, v86, v22
	v_mul_f16_e64 v86, 0x3853, v149
	v_add_f16_e32 v79, v88, v79
	v_add_f16_e32 v16, v83, v16
	;; [unrolled: 1-line block ×3, first 2 shown]
	v_pk_fma_f16 v15, 0x3853b482, v149, v85 op_sel:[0,0,1] op_sel_hi:[1,1,0] neg_lo:[0,1,0] neg_hi:[0,1,0]
	v_lshrrev_b32_e32 v83, 16, v13
	v_fma_f16 v88, v148, 0x3abb, -v151
	v_fma_f16 v151, 0xbbad, v148, v150
	v_mul_f16_e64 v148, 0xba0c, v82
	v_bfi_b32 v30, 0xffff, v30, v15
	v_add_f16_e32 v15, v15, v22
	v_fmamk_f16 v22, v83, 0x3abb, v86
	v_pk_mul_f16 v24, 0xbbad, v24 op_sel_hi:[0,1]
	v_fma_f16 v150, v13, 0xb93d, -v148
	v_fmac_f16_e64 v148, 0xb93d, v13
	v_pk_add_f16 v20, v30, v20
	v_add_f16_e32 v22, v22, v78
	v_mul_f16_e32 v78, 0x3b47, v82
	v_mul_f16_e32 v30, 0xb93d, v83
	v_add_f16_e64 v19, v151, v19
	v_add_f16_e64 v79, v148, v79
	v_pk_fma_f16 v148, 0xb482, v18, v24 op_sel:[0,0,1] op_sel_hi:[0,1,0] neg_lo:[0,1,0] neg_hi:[0,1,0]
	v_fma_f16 v151, v13, 0x36a6, -v78
	v_fmac_f16_e32 v78, 0x36a6, v13
	v_add_f16_e64 v29, v150, v29
	v_fma_f16 v82, 0xba0c, v149, v30
	v_mul_f16_e64 v150, 0x3b47, v149
	v_pk_mul_f16 v25, 0x3abb, v25 op_sel_hi:[0,1]
	v_add_f16_e32 v26, v78, v26
	v_alignbit_b32 v78, s0, v148, 16
	v_pk_fma_f16 v18, 0xb482, v18, v24 op_sel:[0,0,1] op_sel_hi:[0,1,0]
	v_add_f16_e32 v81, v82, v81
	v_fma_f16 v82, 0x36a6, v83, v150
	v_pk_fma_f16 v24, 0x3853, v84, v25 op_sel:[0,0,1] op_sel_hi:[0,1,0] neg_lo:[0,1,0] neg_hi:[0,1,0]
	v_pk_mul_f16 v21, 0xb93d, v21 op_sel_hi:[0,1]
	v_alignbit_b32 v31, s0, v11, 16
	v_pk_add_f16 v78, v11, v78
	v_pk_add_f16 v11, v11, v18 op_sel:[1,0] op_sel_hi:[0,1]
	v_pk_fma_f16 v25, 0x3853, v84, v25 op_sel:[0,0,1] op_sel_hi:[0,1,0]
	v_add_f16_e32 v19, v82, v19
	v_alignbit_b32 v18, s0, v24, 16
	v_pk_fma_f16 v82, 0xba0c, v89, v21 op_sel:[0,0,1] op_sel_hi:[0,1,0] neg_lo:[0,1,0] neg_hi:[0,1,0]
	v_pk_mul_f16 v17, 0x36a6, v17 op_sel_hi:[0,1]
	v_pk_add_f16 v31, v31, v148
	v_pk_add_f16 v11, v25, v11
	v_pk_fma_f16 v21, 0xba0c, v89, v21 op_sel:[0,0,1] op_sel_hi:[0,1,0]
	v_fma_f16 v86, v83, 0x3abb, -v86
	v_pk_add_f16 v18, v18, v78
	v_alignbit_b32 v25, s0, v82, 16
	v_pk_fma_f16 v78, 0x3b47, v90, v17 op_sel:[0,0,1] op_sel_hi:[0,1,0] neg_lo:[0,1,0] neg_hi:[0,1,0]
	v_alignbit_b32 v22, v22, v20, 16
	v_pack_b32_f16 v16, v16, v20
	v_pk_add_f16 v20, v24, v31
	v_pk_add_f16 v11, v21, v11
	v_pk_fma_f16 v17, 0x3b47, v90, v17 op_sel:[0,0,1] op_sel_hi:[0,1,0]
	v_pk_mul_f16 v13, 0xb08e, v13 op_sel_hi:[0,1]
	v_pk_mul_f16 v87, 0x3853b482, v149
	v_add_f16_e32 v28, v86, v28
	v_mul_f16_e64 v86, 0xba0c, v149
	v_add_f16_e64 v23, v151, v23
	v_pk_add_f16 v18, v25, v18
	v_alignbit_b32 v21, s0, v78, 16
	v_lshlrev_b32_e32 v14, 16, v14
	v_pk_add_f16 v20, v82, v20
	v_pk_add_f16 v11, v17, v11
	v_pk_fma_f16 v17, 0xbbeb, v149, v13 op_sel:[0,0,1] op_sel_hi:[0,1,0] neg_lo:[0,1,0] neg_hi:[0,1,0]
	v_fma_f16 v83, v83, 0x36a6, -v150
	v_pack_b32_f16 v19, v23, v19
	v_pk_add_f16 v18, v21, v18
	v_pack_b32_f16 v21, v88, v85
	v_bfi_b32 v23, 0xffff, v80, v87
	v_pk_add_f16 v24, v30, v86 neg_lo:[0,1] neg_hi:[0,1]
	v_pk_add_f16 v14, v147, v14
	v_pk_fma_f16 v13, 0xbbeb, v149, v13 op_sel:[0,0,1] op_sel_hi:[0,1,0]
	v_pk_add_f16 v20, v78, v20
	v_alignbit_b32 v25, s0, v17, 16
	v_add_f16_e32 v27, v83, v27
	v_pk_add_f16 v21, v21, v23
	v_bfi_b32 v14, 0xffff, v24, v14
	v_add_co_u32 v42, null, 0x6e, v128
	v_pk_add_f16 v11, v13, v11
	v_pk_add_f16 v13, v17, v20
	v_pk_add_f16 v17, v25, v18
	v_pack_b32_f16 v18, v26, v27
	v_pk_add_f16 v14, v14, v21
	v_mul_u32_u24_e32 v147, 11, v42
	v_pack_b32_f16 v20, v29, v81
	v_alignbit_b32 v13, v13, v11, 16
	v_pack_b32_f16 v11, v17, v11
	ds_store_2addr_b32 v169, v10, v18 offset1:7
	v_alignbit_b32 v10, v28, v14, 16
	v_pack_b32_f16 v14, v79, v14
	v_pack_b32_f16 v12, v12, v15
	s_wait_alu 0xf1ff
	v_add_co_ci_u32_e64 v152, null, 0, 0, s2
	ds_store_2addr_b32 v169, v16, v22 offset0:1 offset1:2
	ds_store_2addr_b32 v169, v20, v19 offset0:3 offset1:4
	;; [unrolled: 1-line block ×4, first 2 shown]
	ds_store_b32 v169, v12 offset:40
	s_and_saveexec_b32 s2, vcc_lo
	s_cbranch_execz .LBB0_7
; %bb.6:
	v_pk_add_f16 v1, v1, v0
	v_pk_mul_f16 v25, 0x3abbbbad, v35
	v_mul_f16_e32 v10, 0x3abb, v35
	v_alignbit_b32 v26, v72, v72, 16
	v_mul_f16_e32 v11, 0x36a6, v35
	v_pk_add_f16 v1, v8, v1
	v_bfi_b32 v8, 0xffff, v33, v25
	v_mul_f16_e32 v12, 0x36a6, v38
	v_mul_f16_e32 v13, 0x36a6, v46
	v_alignbit_b32 v27, v74, v74, 16
	v_pk_add_f16 v1, v9, v1
	v_pk_add_f16 v8, v10, v8 neg_lo:[0,1] neg_hi:[0,1]
	v_pk_add_f16 v9, v26, v25
	v_bfi_b32 v10, 0xffff, v34, v68
	v_mul_f16_e32 v14, 0xb93d, v46
	v_pk_add_f16 v1, v6, v1
	v_mul_f16_e32 v15, 0xb93d, v47
	v_add_f16_e32 v12, v37, v12
	v_sub_f16_e32 v11, v11, v36
	v_mul_f16_e32 v16, 0xb08e, v51
	v_alignbit_b32 v28, v75, v75, 16
	v_bfi_b32 v6, 0xffff, v39, v69
	v_bfi_b32 v8, 0xffff, v8, v9
	v_pk_add_f16 v9, v13, v10 neg_lo:[0,1] neg_hi:[0,1]
	v_pk_add_f16 v10, v27, v68
	v_pk_add_f16 v1, v7, v1
	v_mul_f16_e32 v17, 0xbbad, v51
	v_mul_f16_e32 v18, 0xbbad, v52
	v_add_f16_e32 v12, v12, v66
	v_add_f16_e32 v15, v44, v15
	;; [unrolled: 1-line block ×3, first 2 shown]
	v_sub_f16_e32 v14, v14, v40
	v_mul_f16_e32 v19, 0xb93d, v55
	v_alignbit_b32 v29, v76, v76, 16
	v_pk_add_f16 v6, v16, v6 neg_lo:[0,1] neg_hi:[0,1]
	v_pk_add_f16 v7, v28, v69
	v_bfi_b32 v13, 0xffff, v45, v73
	v_bfi_b32 v9, 0xffff, v9, v10
	v_pk_add_f16 v1, v4, v1
	v_pk_add_f16 v0, v8, v0
	v_mul_f16_e32 v20, 0xb08e, v55
	v_mul_f16_e32 v21, 0xb08e, v61
	v_add_f16_e32 v12, v15, v12
	v_add_f16_e32 v15, v49, v18
	v_add_f16_e32 v11, v14, v11
	v_sub_f16_e32 v14, v17, v41
	v_mul_f16_e32 v22, 0xbbad, v67
	v_alignbit_b32 v18, v77, v77, 16
	v_bfi_b32 v4, 0xffff, v6, v7
	v_pk_add_f16 v6, v19, v13 neg_lo:[0,1] neg_hi:[0,1]
	v_pk_add_f16 v7, v29, v73
	v_pk_add_f16 v1, v5, v1
	;; [unrolled: 1-line block ×3, first 2 shown]
	v_bfi_b32 v5, 0xffff, v53, v70
	v_mul_f16_e32 v23, 0x3abb, v67
	v_mul_f16_e32 v24, 0x3abb, v71
	v_add_f16_e32 v12, v15, v12
	v_add_f16_e32 v15, v50, v21
	;; [unrolled: 1-line block ×3, first 2 shown]
	v_sub_f16_e32 v14, v20, v48
	v_bfi_b32 v6, 0xffff, v6, v7
	v_pk_add_f16 v1, v2, v1
	v_pk_add_f16 v0, v4, v0
	v_pk_add_f16 v2, v22, v5 neg_lo:[0,1] neg_hi:[0,1]
	v_pk_add_f16 v4, v18, v70
	v_add_f16_e32 v12, v15, v12
	v_add_f16_e32 v15, v63, v24
	;; [unrolled: 1-line block ×3, first 2 shown]
	v_sub_f16_e32 v5, v23, v54
	v_pk_add_f16 v1, v3, v1
	v_pk_add_f16 v0, v6, v0
	v_bfi_b32 v2, 0xffff, v2, v4
	v_add_f16_e32 v7, v15, v12
	v_add_f16_e32 v3, v5, v8
	v_lshlrev_b32_e32 v4, 2, v147
	v_pk_add_f16 v1, v32, v1
	v_pk_add_f16 v0, v2, v0
	v_perm_b32 v5, v142, v65, 0x5040100
	v_pack_b32_f16 v2, v3, v7
	v_perm_b32 v3, v141, v64, 0x5040100
	v_perm_b32 v6, v145, v146, 0x5040100
	v_alignbit_b32 v7, v144, v145, 16
	v_perm_b32 v8, v140, v59, 0x5040100
	v_perm_b32 v9, v143, v62, 0x5040100
	v_bfi_b32 v10, 0xffff, v138, v146
	v_perm_b32 v11, v139, v60, 0x5040100
	ds_store_2addr_b32 v4, v1, v0 offset1:1
	ds_store_2addr_b32 v4, v2, v3 offset0:2 offset1:3
	ds_store_b32 v4, v5 offset:16
	ds_store_2addr_b32 v4, v6, v7 offset0:5 offset1:6
	ds_store_2addr_b32 v4, v9, v8 offset0:7 offset1:8
	;; [unrolled: 1-line block ×3, first 2 shown]
.LBB0_7:
	s_wait_alu 0xfffe
	s_or_b32 exec_lo, exec_lo, s2
	v_add_co_u32 v52, null, 0xdc, v128
	v_and_b32_e32 v0, 0xff, v128
	v_and_b32_e32 v1, 0xff, v43
	;; [unrolled: 1-line block ×3, first 2 shown]
	s_delay_alu instid0(VALU_DEP_4) | instskip(SKIP_3) | instid1(VALU_DEP_4)
	v_and_b32_e32 v27, 0xffff, v52
	v_add_co_u32 v53, null, 0xa5, v128
	v_mul_lo_u16 v0, 0x75, v0
	v_mul_lo_u16 v1, 0x75, v1
	v_mul_u32_u24_e32 v2, 0xba2f, v27
	s_delay_alu instid0(VALU_DEP_4)
	v_and_b32_e32 v29, 0xff, v53
	global_wb scope:SCOPE_SE
	s_wait_dscnt 0x0
	v_lshrrev_b16 v0, 8, v0
	v_lshrrev_b16 v1, 8, v1
	v_lshrrev_b32_e32 v28, 19, v2
	v_mul_lo_u16 v2, 0x75, v26
	s_barrier_signal -1
	v_sub_nc_u16 v3, v128, v0
	v_sub_nc_u16 v5, v43, v1
	v_mul_lo_u16 v4, v28, 11
	v_lshrrev_b16 v2, 8, v2
	s_barrier_wait -1
	v_lshrrev_b16 v3, 1, v3
	v_lshrrev_b16 v5, 1, v5
	v_sub_nc_u16 v30, v52, v4
	v_sub_nc_u16 v4, v42, v2
	global_inv scope:SCOPE_SE
	v_and_b32_e32 v3, 0x7f, v3
	v_and_b32_e32 v5, 0x7f, v5
	v_lshlrev_b16 v6, 2, v30
	v_lshrrev_b16 v4, 1, v4
	v_add_nc_u32_e32 v71, 0x800, v91
	v_add_nc_u16 v0, v3, v0
	v_add_nc_u16 v1, v5, v1
	v_and_b32_e32 v3, 0xffff, v6
	v_and_b32_e32 v4, 0x7f, v4
	v_mul_lo_u16 v6, 0x75, v29
	v_lshrrev_b16 v40, 3, v0
	v_lshrrev_b16 v38, 3, v1
	v_lshlrev_b32_e32 v3, 2, v3
	v_add_nc_u16 v4, v4, v2
	v_lshrrev_b16 v6, 8, v6
	v_mul_lo_u16 v5, v40, 11
	v_add_nc_u32_e32 v72, 0x200, v91
	global_load_b128 v[0:3], v3, s[0:1]
	v_lshrrev_b16 v34, 3, v4
	v_mul_lo_u16 v4, v38, 11
	v_sub_nc_u16 v5, v128, v5
	v_add_nc_u32_e32 v61, 0x1000, v91
	v_add_nc_u32_e32 v73, 0x400, v91
	v_mul_lo_u16 v7, v34, 11
	v_sub_nc_u16 v4, v43, v4
	v_and_b32_e32 v41, 0xff, v5
	v_sub_nc_u16 v5, v53, v6
	v_add_nc_u32_e32 v77, 0xc00, v91
	v_sub_nc_u16 v7, v42, v7
	v_and_b32_e32 v37, 0xff, v4
	v_lshlrev_b32_e32 v4, 4, v41
	v_lshrrev_b16 v5, 1, v5
	v_add_nc_u32_e32 v81, 0xe00, v91
	v_and_b32_e32 v36, 0xff, v7
	v_lshlrev_b32_e32 v7, 4, v37
	global_load_b128 v[16:19], v4, s[0:1]
	v_and_b32_e32 v4, 0x7f, v5
	ds_load_2addr_b32 v[24:25], v91 offset1:55
	v_lshlrev_b32_e32 v5, 4, v36
	global_load_b128 v[12:15], v7, s[0:1]
	ds_load_2addr_b32 v[22:23], v91 offset0:110 offset1:165
	v_add_nc_u16 v4, v4, v6
	v_and_b32_e32 v40, 0xffff, v40
	global_load_b128 v[8:11], v5, s[0:1]
	v_and_b32_e32 v38, 0xffff, v38
	v_and_b32_e32 v34, 0xffff, v34
	v_lshrrev_b16 v35, 3, v4
	v_mul_u32_u24_e32 v40, 55, v40
	v_mul_u32_u24_e32 v27, 0x29e5, v27
	;; [unrolled: 1-line block ×3, first 2 shown]
	v_mad_u16 v28, v28, 55, v30
	v_mul_lo_u16 v4, v35, 11
	v_and_b32_e32 v35, 0xffff, v35
	s_delay_alu instid0(VALU_DEP_2)
	v_sub_nc_u16 v4, v53, v4
	s_wait_dscnt 0x1
	v_lshrrev_b32_e32 v45, 16, v24
	v_lshrrev_b32_e32 v44, 16, v25
	s_wait_dscnt 0x0
	v_lshrrev_b32_e32 v39, 16, v22
	v_and_b32_e32 v33, 0xff, v4
	v_lshrrev_b32_e32 v31, 16, v23
	s_delay_alu instid0(VALU_DEP_2)
	v_lshlrev_b32_e32 v4, 4, v33
	global_load_b128 v[4:7], v4, s[0:1]
	ds_load_b32 v55, v91 offset:5280
	ds_load_2addr_b32 v[20:21], v72 offset0:92 offset1:147
	ds_load_2addr_b32 v[66:67], v71 offset0:38 offset1:93
	;; [unrolled: 1-line block ×10, first 2 shown]
	global_wb scope:SCOPE_SE
	s_wait_loadcnt_dscnt 0x0
	s_barrier_signal -1
	s_barrier_wait -1
	global_inv scope:SCOPE_SE
	v_lshrrev_b32_e32 v63, 16, v55
	v_lshrrev_b32_e32 v70, 16, v21
	;; [unrolled: 1-line block ×25, first 2 shown]
	s_delay_alu instid0(VALU_DEP_4)
	v_mul_f16_e64 v54, v50, v151
	v_mul_f16_e64 v46, v89, v151
	;; [unrolled: 1-line block ×8, first 2 shown]
	v_fma_f16 v54, v89, v0, -v54
	v_fmac_f16_e32 v46, v50, v0
	v_fma_f16 v50, v68, v1, -v153
	v_fmac_f16_e32 v47, v51, v1
	v_fma_f16 v51, v159, v2, -v154
	v_lshrrev_b32_e32 v172, 16, v16
	v_lshrrev_b32_e32 v171, 16, v17
	;; [unrolled: 1-line block ×6, first 2 shown]
	v_fmac_f16_e64 v48, v152, v2
	v_fma_f16 v55, v55, v3, -v155
	v_lshrrev_b32_e32 v156, 16, v9
	v_fmac_f16_e32 v49, v63, v3
	v_lshrrev_b32_e32 v165, 16, v13
	v_lshrrev_b32_e32 v161, 16, v15
	;; [unrolled: 1-line block ×5, first 2 shown]
	v_mul_f16_e64 v63, v70, v172
	v_mul_f16_e64 v68, v21, v172
	;; [unrolled: 1-line block ×21, first 2 shown]
	v_lshrrev_b32_e32 v160, 16, v4
	v_lshrrev_b32_e32 v157, 16, v5
	;; [unrolled: 1-line block ×3, first 2 shown]
	v_mul_f16_e64 v201, v83, v154
	v_mul_f16_e64 v202, v177, v152
	;; [unrolled: 1-line block ×3, first 2 shown]
	v_lshrrev_b32_e32 v153, 16, v7
	v_fma_f16 v21, v21, v16, -v63
	v_fmac_f16_e32 v68, v70, v16
	v_fma_f16 v63, v66, v17, -v89
	v_fma_f16 v66, v69, v18, -v183
	;; [unrolled: 1-line block ×6, first 2 shown]
	v_mul_f16_e64 v82, v178, v160
	v_mul_f16_e64 v84, v179, v157
	;; [unrolled: 1-line block ×3, first 2 shown]
	v_fmac_f16_e64 v182, v76, v17
	v_fmac_f16_e64 v184, v80, v18
	;; [unrolled: 1-line block ×4, first 2 shown]
	v_fma_f16 v67, v67, v13, -v189
	v_fmac_f16_e64 v190, v164, v13
	v_fmac_f16_e64 v192, v166, v14
	v_fma_f16 v75, v75, v15, -v194
	v_fmac_f16_e64 v195, v173, v15
	v_fma_f16 v76, v79, v8, -v196
	v_fmac_f16_e64 v197, v174, v8
	v_fmac_f16_e64 v199, v175, v9
	v_fma_f16 v79, v83, v10, -v200
	v_fmac_f16_e64 v201, v176, v10
	v_fma_f16 v80, v86, v11, -v202
	v_fmac_f16_e64 v203, v177, v11
	v_mul_f16_e64 v83, v88, v160
	v_mul_f16_e64 v86, v85, v157
	v_mul_f16_e64 v90, v158, v155
	v_mul_f16_e64 v162, v181, v153
	v_mul_f16_e64 v164, v87, v153
	v_fma_f16 v82, v88, v4, -v82
	v_fma_f16 v84, v85, v5, -v84
	;; [unrolled: 1-line block ×3, first 2 shown]
	v_add_f16_e32 v88, v24, v21
	v_add_f16_e32 v89, v63, v66
	v_fmac_f16_e64 v83, v178, v4
	v_fmac_f16_e64 v86, v179, v5
	;; [unrolled: 1-line block ×3, first 2 shown]
	v_fma_f16 v87, v87, v7, -v162
	v_fmac_f16_e64 v164, v181, v7
	v_sub_f16_e64 v158, v68, v186
	v_sub_f16_e64 v166, v21, v63
	;; [unrolled: 1-line block ×3, first 2 shown]
	v_add_f16_e64 v174, v21, v69
	v_sub_f16_e64 v175, v63, v21
	v_sub_f16_e64 v176, v66, v69
	v_add_f16_e64 v177, v45, v68
	v_add_f16_e64 v178, v182, v184
	v_sub_f16_e64 v179, v63, v66
	v_sub_f16_e64 v180, v68, v182
	v_sub_f16_e64 v181, v186, v184
	v_add_f16_e64 v183, v68, v186
	v_add_f16_e64 v189, v67, v74
	v_sub_f16_e64 v191, v188, v195
	;; [unrolled: 5-line block ×3, first 2 shown]
	v_sub_f16_e64 v209, v195, v192
	v_add_f16_e64 v210, v188, v195
	v_sub_f16_e64 v188, v190, v188
	v_sub_f16_e64 v211, v192, v195
	v_add_f16_e64 v221, v39, v197
	v_add_f16_e64 v222, v199, v201
	;; [unrolled: 1-line block ×3, first 2 shown]
	v_add_f16_e32 v63, v88, v63
	v_fma_f16 v89, -0.5, v89, v24
	v_sub_f16_e64 v162, v182, v184
	v_sub_f16_e64 v68, v182, v68
	v_add_f16_e64 v187, v25, v70
	v_sub_f16_e64 v194, v190, v192
	v_sub_f16_e64 v202, v67, v70
	;; [unrolled: 1-line block ×3, first 2 shown]
	v_add_f16_e64 v212, v22, v76
	v_sub_f16_e64 v214, v197, v203
	v_sub_f16_e64 v215, v199, v201
	;; [unrolled: 1-line block ×9, first 2 shown]
	v_add_f16_e64 v88, v166, v173
	v_add_f16_e64 v166, v175, v176
	;; [unrolled: 1-line block ×3, first 2 shown]
	v_fma_f16 v24, -0.5, v174, v24
	v_fma_f16 v174, -0.5, v178, v45
	v_add_f16_e64 v175, v180, v181
	v_fmac_f16_e64 v45, -0.5, v183
	v_fma_f16 v176, -0.5, v189, v25
	v_add_f16_e64 v177, v196, v198
	v_add_f16_e64 v180, v205, v190
	v_fma_f16 v181, -0.5, v206, v44
	v_add_f16_e64 v182, v208, v209
	v_fmac_f16_e64 v44, -0.5, v210
	v_add_f16_e64 v183, v188, v211
	v_add_f16_e64 v189, v221, v199
	v_fma_f16 v190, -0.5, v222, v39
	v_fmac_f16_e64 v39, -0.5, v226
	v_add_f16_e64 v198, v23, v82
	v_add_f16_e64 v199, v84, v85
	;; [unrolled: 1-line block ×3, first 2 shown]
	v_sub_f16_e64 v208, v84, v82
	v_sub_f16_e64 v209, v85, v87
	v_add_f16_e64 v210, v31, v83
	v_add_f16_e64 v211, v86, v90
	v_add_f16_e32 v63, v63, v66
	v_fma_f16 v66, 0x3b9c, v158, v89
	v_fmac_f16_e64 v89, 0xbb9c, v158
	v_sub_f16_e32 v21, v21, v69
	v_sub_f16_e64 v185, v184, v186
	v_add_f16_e64 v200, v70, v75
	v_sub_f16_e64 v207, v67, v74
	v_add_f16_e64 v213, v78, v79
	v_add_f16_e64 v218, v76, v80
	v_sub_f16_e32 v76, v76, v80
	v_add_f16_e64 v67, v187, v67
	v_add_f16_e64 v178, v202, v204
	;; [unrolled: 1-line block ×5, first 2 shown]
	v_sub_f16_e64 v204, v82, v84
	v_sub_f16_e64 v205, v87, v85
	v_sub_f16_e32 v82, v82, v87
	v_sub_f16_e64 v212, v84, v85
	v_add_f16_e64 v217, v83, v164
	v_fma_f16 v219, 0x3b9c, v179, v45
	v_fmac_f16_e64 v45, 0xbb9c, v179
	v_add_f16_e64 v84, v198, v84
	v_fma_f16 v199, -0.5, v199, v23
	v_fmac_f16_e64 v23, -0.5, v206
	v_fma_f16 v206, 0x3b9c, v223, v39
	v_fmac_f16_e64 v39, 0xbb9c, v223
	v_add_f16_e64 v208, v208, v209
	v_add_f16_e64 v209, v210, v86
	v_fma_f16 v210, -0.5, v211, v31
	v_fmac_f16_e64 v66, 0x38b4, v162
	v_fmac_f16_e64 v89, 0xb8b4, v162
	v_add_f16_e64 v68, v68, v185
	v_fmac_f16_e64 v25, -0.5, v200
	v_fma_f16 v185, -0.5, v213, v22
	v_sub_f16_e64 v200, v83, v164
	v_sub_f16_e64 v202, v86, v90
	;; [unrolled: 1-line block ×4, first 2 shown]
	v_add_f16_e64 v204, v204, v205
	v_fma_f16 v205, 0xbb9c, v76, v190
	v_fmac_f16_e64 v190, 0x3b9c, v76
	v_fmac_f16_e64 v31, -0.5, v217
	v_fmac_f16_e64 v219, 0xb8b4, v21
	v_fmac_f16_e32 v45, 0x38b4, v21
	v_fmac_f16_e64 v206, 0xb8b4, v76
	v_fmac_f16_e32 v39, 0x38b4, v76
	v_add_f16_e32 v76, v84, v85
	v_add_f16_e64 v84, v209, v90
	v_fma_f16 v85, 0xbb9c, v82, v210
	v_fmac_f16_e32 v66, 0x34f2, v88
	v_fmac_f16_e32 v89, 0x34f2, v88
	v_fmac_f16_e64 v210, 0x3b9c, v82
	v_sub_f16_e32 v83, v86, v83
	v_sub_f16_e64 v86, v90, v164
	v_add_f16_e32 v88, v50, v51
	v_fma_f16 v22, -0.5, v218, v22
	v_fma_f16 v218, 0xbb9c, v162, v24
	v_fmac_f16_e64 v24, 0x3b9c, v162
	v_fmac_f16_e64 v219, 0x34f2, v68
	v_fmac_f16_e32 v45, 0x34f2, v68
	v_add_f16_e32 v68, v76, v87
	v_add_f16_e64 v76, v84, v164
	v_fmac_f16_e64 v85, 0xb8b4, v212
	v_add_f16_e64 v84, v213, v216
	v_fma_f16 v87, 0x3b9c, v212, v31
	v_fmac_f16_e64 v210, 0x38b4, v212
	v_add_f16_e32 v83, v83, v86
	v_fmac_f16_e64 v31, 0xbb9c, v212
	v_add_f16_e32 v86, v20, v54
	v_fma_f16 v88, -0.5, v88, v20
	v_sub_f16_e32 v90, v46, v49
	v_fmac_f16_e64 v218, 0x38b4, v158
	v_fmac_f16_e64 v24, 0xb8b4, v158
	v_fmac_f16_e32 v85, 0x34f2, v84
	v_fmac_f16_e32 v87, 0xb8b4, v82
	v_fmac_f16_e64 v210, 0x34f2, v84
	v_fmac_f16_e32 v31, 0x38b4, v82
	v_add_f16_e32 v82, v86, v50
	v_fmamk_f16 v84, v90, 0x3b9c, v88
	v_sub_f16_e32 v86, v47, v48
	v_sub_f16_e64 v158, v54, v50
	v_sub_f16_e64 v162, v55, v51
	v_fmac_f16_e32 v88, 0xbb9c, v90
	v_add_f16_e64 v164, v54, v55
	v_fmac_f16_e32 v84, 0x38b4, v86
	v_add_f16_e64 v173, v173, v184
	v_add_f16_e64 v158, v158, v162
	v_fmac_f16_e32 v88, 0xb8b4, v86
	v_fmac_f16_e64 v20, -0.5, v164
	v_fma_f16 v184, 0xbb9c, v21, v174
	v_fmac_f16_e64 v174, 0x3b9c, v21
	v_fmac_f16_e64 v84, 0x34f2, v158
	;; [unrolled: 1-line block ×3, first 2 shown]
	v_add_f16_e64 v158, v32, v46
	v_fmac_f16_e64 v218, 0x34f2, v166
	v_fmac_f16_e64 v24, 0x34f2, v166
	v_fmac_f16_e32 v87, 0x34f2, v83
	v_add_f16_e32 v82, v82, v51
	v_fmac_f16_e32 v31, 0x34f2, v83
	v_fmamk_f16 v83, v86, 0xbb9c, v20
	v_add_f16_e64 v162, v47, v48
	v_sub_f16_e64 v164, v50, v54
	v_sub_f16_e64 v166, v51, v55
	v_fmac_f16_e32 v20, 0x3b9c, v86
	v_add_f16_e64 v86, v158, v47
	v_add_f16_e64 v158, v46, v49
	v_add_f16_e32 v63, v63, v69
	v_add_f16_e64 v69, v173, v186
	v_fmac_f16_e64 v184, 0xb8b4, v179
	v_fmac_f16_e64 v174, 0x38b4, v179
	v_add_f16_e32 v82, v82, v55
	v_fma_f16 v173, -0.5, v162, v32
	v_sub_f16_e32 v54, v54, v55
	v_fmac_f16_e32 v83, 0x38b4, v90
	v_add_f16_e64 v55, v164, v166
	v_fmac_f16_e32 v20, 0xb8b4, v90
	v_sub_f16_e32 v50, v50, v51
	v_fmac_f16_e64 v32, -0.5, v158
	v_sub_f16_e32 v70, v70, v75
	v_fmac_f16_e64 v184, 0x34f2, v175
	v_fmac_f16_e64 v174, 0x34f2, v175
	v_fmac_f16_e32 v83, 0x34f2, v55
	v_fmac_f16_e32 v20, 0x34f2, v55
	v_sub_f16_e32 v55, v46, v47
	v_fma_f16 v175, 0x3b9c, v50, v32
	v_sub_f16_e32 v46, v47, v46
	v_sub_f16_e32 v47, v48, v49
	v_fmac_f16_e32 v32, 0xbb9c, v50
	v_sub_f16_e64 v225, v203, v201
	v_sub_f16_e64 v227, v201, v203
	v_add_f16_e32 v67, v67, v74
	v_fma_f16 v74, 0x3b9c, v191, v176
	v_add_f16_e64 v180, v180, v192
	v_fma_f16 v192, 0xbb9c, v70, v181
	v_add_f16_e64 v189, v189, v201
	v_fma_f16 v201, 0x3b9c, v214, v185
	v_fmac_f16_e64 v175, 0xb8b4, v54
	v_add_f16_e32 v46, v46, v47
	v_fmac_f16_e32 v32, 0x38b4, v54
	v_fma_f16 v220, 0xbb9c, v194, v25
	v_fmac_f16_e64 v25, 0x3b9c, v194
	v_add_f16_e32 v78, v78, v79
	v_fma_f16 v79, 0x3b9c, v207, v44
	v_fmac_f16_e64 v44, 0xbb9c, v207
	v_fmac_f16_e64 v176, 0xbb9c, v191
	;; [unrolled: 1-line block ×3, first 2 shown]
	v_add_f16_e64 v196, v224, v225
	v_fma_f16 v198, 0xbb9c, v215, v22
	v_fmac_f16_e64 v22, 0x3b9c, v215
	v_fmac_f16_e64 v74, 0x38b4, v194
	;; [unrolled: 1-line block ×6, first 2 shown]
	v_fmac_f16_e32 v32, 0x34f2, v46
	v_add_lshl_u32 v158, v40, v41, 2
	v_pack_b32_f16 v40, v63, v69
	v_pack_b32_f16 v41, v66, v184
	;; [unrolled: 1-line block ×4, first 2 shown]
	v_fmac_f16_e64 v185, 0xbb9c, v214
	v_fmac_f16_e64 v220, 0x38b4, v191
	;; [unrolled: 1-line block ×3, first 2 shown]
	v_fmac_f16_e32 v79, 0xb8b4, v70
	v_fmac_f16_e32 v44, 0x38b4, v70
	v_pack_b32_f16 v45, v89, v174
	v_fmac_f16_e64 v176, 0xb8b4, v194
	v_fmac_f16_e64 v181, 0x38b4, v207
	v_add_f16_e64 v197, v197, v227
	v_add_f16_e32 v21, v67, v75
	v_add_f16_e64 v67, v180, v195
	v_add_f16_e32 v70, v78, v80
	v_fmac_f16_e64 v198, 0x38b4, v214
	v_fmac_f16_e64 v22, 0xb8b4, v214
	v_add_f16_e64 v75, v189, v203
	v_fma_f16 v78, 0x3b9c, v200, v199
	v_fmac_f16_e64 v74, 0x34f2, v177
	v_fmac_f16_e64 v192, 0x34f2, v182
	;; [unrolled: 1-line block ×4, first 2 shown]
	ds_store_2addr_b32 v158, v40, v41 offset1:11
	ds_store_2addr_b32 v158, v46, v24 offset0:22 offset1:33
	ds_store_b32 v158, v45 offset:176
	v_mul_u32_u24_e32 v24, 55, v34
	v_fmac_f16_e64 v185, 0xb8b4, v215
	v_fmac_f16_e64 v190, 0x38b4, v223
	;; [unrolled: 1-line block ×13, first 2 shown]
	v_add_f16_e32 v86, v86, v48
	v_add_lshl_u32 v162, v38, v37, 2
	v_pack_b32_f16 v21, v21, v67
	v_pack_b32_f16 v34, v74, v192
	v_add_lshl_u32 v164, v24, v36, 2
	v_pack_b32_f16 v24, v70, v75
	v_pack_b32_f16 v36, v201, v205
	v_fmac_f16_e64 v185, 0x34f2, v187
	v_fmac_f16_e64 v190, 0x34f2, v196
	v_pack_b32_f16 v37, v220, v79
	v_pack_b32_f16 v25, v25, v44
	;; [unrolled: 1-line block ×3, first 2 shown]
	v_fma_f16 v80, 0xbb9c, v202, v23
	v_fmac_f16_e64 v23, 0x3b9c, v202
	v_fmac_f16_e64 v78, 0x34f2, v204
	v_fma_f16 v90, 0xbb9c, v54, v173
	v_add_f16_e32 v51, v86, v49
	v_sub_f16_e32 v86, v49, v48
	ds_store_2addr_b32 v162, v21, v34 offset1:11
	ds_store_2addr_b32 v162, v37, v25 offset0:22 offset1:33
	ds_store_b32 v162, v38 offset:176
	v_mul_u32_u24_e32 v21, 55, v35
	ds_store_2addr_b32 v164, v24, v36 offset1:11
	v_pack_b32_f16 v24, v198, v206
	v_pack_b32_f16 v22, v22, v39
	v_fmac_f16_e64 v199, 0xbb9c, v200
	v_pack_b32_f16 v25, v185, v190
	v_fmac_f16_e64 v80, 0x38b4, v200
	v_fmac_f16_e64 v23, 0xb8b4, v200
	v_fmac_f16_e32 v90, 0xb8b4, v50
	v_add_f16_e32 v48, v55, v86
	v_add_lshl_u32 v166, v21, v33, 2
	v_pack_b32_f16 v21, v68, v76
	v_pack_b32_f16 v33, v78, v85
	ds_store_2addr_b32 v164, v24, v22 offset0:22 offset1:33
	ds_store_b32 v164, v25 offset:176
	v_lshrrev_b32_e32 v22, 16, v27
	v_fmac_f16_e64 v199, 0xb8b4, v202
	v_fmac_f16_e64 v80, 0x34f2, v208
	;; [unrolled: 1-line block ×3, first 2 shown]
	v_fmac_f16_e32 v90, 0x34f2, v48
	ds_store_2addr_b32 v166, v21, v33 offset1:11
	v_and_b32_e32 v21, 0xffff, v28
	v_sub_nc_u16 v25, v52, v22
	v_fmac_f16_e64 v199, 0x34f2, v204
	v_pack_b32_f16 v24, v80, v87
	v_pack_b32_f16 v23, v23, v31
	v_lshlrev_b32_e32 v190, 2, v21
	v_pack_b32_f16 v21, v82, v51
	v_pack_b32_f16 v28, v84, v90
	v_lshrrev_b16 v25, 1, v25
	v_pack_b32_f16 v27, v199, v210
	ds_store_2addr_b32 v166, v24, v23 offset0:22 offset1:33
	ds_store_b32 v166, v27 offset:176
	v_mul_lo_u16 v23, 0x95, v26
	ds_store_2addr_b32 v190, v21, v28 offset1:11
	v_add_nc_u16 v21, v25, v22
	v_pack_b32_f16 v22, v83, v175
	v_pack_b32_f16 v20, v20, v32
	v_lshrrev_b16 v23, 13, v23
	v_mul_lo_u16 v24, 0x95, v29
	v_lshrrev_b16 v21, 5, v21
	v_fmac_f16_e64 v173, 0x3b9c, v54
	ds_store_2addr_b32 v190, v22, v20 offset0:22 offset1:33
	v_mul_lo_u16 v20, v23, 55
	v_lshrrev_b16 v22, 13, v24
	v_mul_lo_u16 v21, v21, 55
	v_fmac_f16_e64 v173, 0x38b4, v50
	v_lshlrev_b32_e32 v44, 4, v128
	v_sub_nc_u16 v20, v42, v20
	v_mul_lo_u16 v22, v22, 55
	v_sub_nc_u16 v45, v52, v21
	v_fmac_f16_e64 v173, 0x34f2, v48
	v_lshlrev_b32_e32 v52, 4, v52
	v_and_b32_e32 v47, 0xff, v20
	v_sub_nc_u16 v20, v53, v22
	v_lshlrev_b16 v21, 4, v45
	v_pack_b32_f16 v25, v88, v173
	v_and_b32_e32 v45, 0xffff, v45
	v_lshlrev_b32_e32 v22, 4, v47
	v_and_b32_e32 v46, 0xff, v20
	v_and_b32_e32 v20, 0xffff, v21
	ds_store_b32 v190, v25 offset:176
	global_wb scope:SCOPE_SE
	s_wait_dscnt 0x0
	s_barrier_signal -1
	s_barrier_wait -1
	v_add_co_u32 v20, s2, s0, v20
	global_inv scope:SCOPE_SE
	s_clause 0x1
	global_load_b128 v[32:35], v44, s[0:1] offset:176
	global_load_b128 v[28:31], v22, s[0:1] offset:176
	v_lshlrev_b32_e32 v22, 4, v46
	s_wait_alu 0xf1ff
	v_add_co_ci_u32_e64 v21, null, s1, 0, s2
	s_clause 0x1
	global_load_b128 v[24:27], v22, s[0:1] offset:176
	global_load_b128 v[20:23], v[20:21], off offset:176
	ds_load_2addr_b32 v[40:41], v91 offset1:55
	ds_load_2addr_b32 v[36:37], v72 offset0:92 offset1:147
	ds_load_2addr_b32 v[68:69], v71 offset0:38 offset1:93
	;; [unrolled: 1-line block ×11, first 2 shown]
	ds_load_b32 v70, v91 offset:5280
	global_wb scope:SCOPE_SE
	s_wait_loadcnt_dscnt 0x0
	s_barrier_signal -1
	s_barrier_wait -1
	global_inv scope:SCOPE_SE
	v_lshrrev_b32_e32 v54, 16, v40
	v_lshrrev_b32_e32 v90, 16, v37
	;; [unrolled: 1-line block ×30, first 2 shown]
	v_mul_f16_e64 v216, v90, v188
	v_mul_f16_e64 v217, v37, v188
	v_lshrrev_b32_e32 v176, 16, v20
	v_lshrrev_b32_e32 v175, 16, v21
	v_mul_f16_e64 v218, v189, v187
	v_mul_f16_e64 v220, v198, v186
	;; [unrolled: 1-line block ×3, first 2 shown]
	v_lshrrev_b32_e32 v182, 16, v30
	v_lshrrev_b32_e32 v181, 16, v31
	;; [unrolled: 1-line block ×5, first 2 shown]
	v_mul_f16_e64 v219, v68, v187
	v_mul_f16_e64 v221, v80, v186
	v_mul_f16_e64 v223, v82, v185
	v_mul_f16_e64 v225, v84, v188
	v_mul_f16_e64 v226, v201, v187
	v_mul_f16_e64 v244, v212, v176
	v_mul_f16_e64 v245, v213, v175
	v_fma_f16 v218, v68, v33, -v218
	v_fma_f16 v82, v82, v35, -v222
	v_fmac_f16_e64 v217, v90, v32
	v_fma_f16 v90, v37, v32, -v216
	v_fma_f16 v80, v80, v34, -v220
	v_lshrrev_b32_e32 v183, 16, v29
	v_lshrrev_b32_e32 v179, 16, v25
	;; [unrolled: 1-line block ×3, first 2 shown]
	v_mul_f16_e64 v224, v200, v188
	v_mul_f16_e64 v227, v69, v187
	;; [unrolled: 1-line block ×14, first 2 shown]
	v_fma_f16 v226, v69, v33, -v226
	v_fmac_f16_e64 v219, v189, v33
	v_fmac_f16_e64 v221, v198, v34
	;; [unrolled: 1-line block ×4, first 2 shown]
	v_fma_f16 v69, v195, v20, -v244
	v_fma_f16 v37, v79, v21, -v245
	v_add_f16_e32 v79, v40, v90
	v_add_f16_e64 v195, v218, v80
	v_add_f16_e64 v200, v90, v82
	v_mul_f16_e64 v228, v202, v186
	v_mul_f16_e64 v230, v203, v185
	;; [unrolled: 1-line block ×9, first 2 shown]
	v_fma_f16 v84, v84, v32, -v224
	v_fmac_f16_e64 v227, v201, v33
	v_fmac_f16_e64 v229, v202, v34
	;; [unrolled: 1-line block ×7, first 2 shown]
	v_fma_f16 v189, v191, v31, -v239
	v_fma_f16 v191, v194, v24, -v241
	;; [unrolled: 1-line block ×4, first 2 shown]
	v_sub_f16_e64 v196, v217, v223
	v_sub_f16_e64 v197, v219, v221
	;; [unrolled: 1-line block ×6, first 2 shown]
	v_add_f16_e64 v203, v54, v217
	v_add_f16_e64 v204, v219, v221
	v_sub_f16_e64 v206, v217, v219
	v_sub_f16_e64 v207, v223, v221
	v_add_f16_e64 v208, v217, v223
	v_add_f16_e64 v79, v79, v218
	v_fma_f16 v195, -0.5, v195, v40
	v_fma_f16 v40, -0.5, v200, v40
	v_mul_f16_e64 v234, v205, v183
	v_mul_f16_e64 v238, v209, v179
	;; [unrolled: 1-line block ×3, first 2 shown]
	v_fma_f16 v83, v83, v35, -v230
	v_fma_f16 v86, v86, v34, -v228
	v_fmac_f16_e64 v235, v205, v29
	v_fmac_f16_e64 v74, v209, v25
	;; [unrolled: 1-line block ×4, first 2 shown]
	v_sub_f16_e64 v205, v218, v80
	v_sub_f16_e64 v209, v219, v217
	;; [unrolled: 1-line block ×3, first 2 shown]
	v_add_f16_e64 v211, v41, v84
	v_add_f16_e64 v198, v198, v199
	;; [unrolled: 1-line block ×5, first 2 shown]
	v_fma_f16 v203, -0.5, v204, v54
	v_fmac_f16_e64 v54, -0.5, v208
	v_add_f16_e32 v79, v79, v80
	v_fma_f16 v80, 0x3b9c, v196, v195
	v_fmac_f16_e64 v195, 0xbb9c, v196
	v_fma_f16 v207, 0xbb9c, v197, v40
	v_fmac_f16_e64 v40, 0x3b9c, v197
	v_fmac_f16_e64 v55, v212, v20
	v_sub_f16_e32 v90, v90, v82
	v_add_f16_e64 v212, v226, v86
	v_add_f16_e64 v217, v84, v83
	;; [unrolled: 1-line block ×4, first 2 shown]
	v_fma_f16 v209, 0x3b9c, v205, v54
	v_fmac_f16_e64 v54, 0xbb9c, v205
	v_fmac_f16_e64 v80, 0x38b4, v197
	v_fmac_f16_e64 v195, 0xb8b4, v197
	v_fmac_f16_e64 v207, 0x38b4, v196
	v_fmac_f16_e64 v40, 0xb8b4, v196
	v_lshrrev_b32_e32 v173, 16, v23
	v_fmac_f16_e64 v67, v214, v22
	v_sub_f16_e64 v214, v227, v229
	v_fma_f16 v206, -0.5, v212, v41
	v_add_f16_e64 v201, v201, v221
	v_fma_f16 v208, 0xbb9c, v90, v203
	v_fmac_f16_e64 v203, 0x3b9c, v90
	v_fmac_f16_e64 v209, 0xb8b4, v90
	v_fmac_f16_e32 v54, 0x38b4, v90
	v_fmac_f16_e64 v80, 0x34f2, v198
	v_fmac_f16_e64 v195, 0x34f2, v198
	;; [unrolled: 1-line block ×4, first 2 shown]
	v_add_f16_e64 v90, v200, v86
	v_fmac_f16_e64 v41, -0.5, v217
	v_sub_f16_e64 v198, v226, v84
	v_sub_f16_e64 v199, v86, v83
	v_add_f16_e64 v200, v51, v225
	v_mul_f16_e64 v66, v70, v173
	v_fmac_f16_e64 v63, v213, v21
	v_sub_f16_e64 v213, v225, v231
	v_add_f16_e32 v79, v79, v82
	v_add_f16_e64 v82, v201, v223
	v_fmac_f16_e64 v208, 0xb8b4, v205
	v_fmac_f16_e64 v203, 0x38b4, v205
	v_fma_f16 v197, 0xbb9c, v214, v41
	v_add_f16_e64 v201, v227, v229
	v_add_f16_e64 v198, v198, v199
	v_fmac_f16_e64 v41, 0x3b9c, v214
	v_add_f16_e64 v199, v200, v227
	v_mul_f16_e64 v247, v215, v173
	v_fmac_f16_e64 v66, v215, v23
	v_sub_f16_e64 v215, v84, v226
	v_sub_f16_e64 v216, v83, v86
	v_fma_f16 v210, 0x3b9c, v213, v206
	v_fmac_f16_e64 v208, 0x34f2, v202
	v_fmac_f16_e64 v203, 0x34f2, v202
	v_add_f16_e32 v90, v90, v83
	v_fmac_f16_e64 v206, 0xbb9c, v213
	v_fmac_f16_e64 v197, 0x38b4, v213
	v_fma_f16 v200, -0.5, v201, v51
	v_sub_f16_e32 v83, v84, v83
	v_fmac_f16_e64 v41, 0xb8b4, v213
	v_add_f16_e64 v84, v199, v229
	v_add_f16_e64 v199, v225, v231
	v_sub_f16_e64 v201, v225, v227
	v_sub_f16_e64 v202, v231, v229
	v_fma_f16 v85, v85, v28, -v232
	v_fma_f16 v87, v87, v30, -v236
	v_fma_f16 v88, v88, v29, -v234
	v_fmac_f16_e64 v210, 0x38b4, v214
	v_add_f16_e64 v196, v215, v216
	v_fmac_f16_e64 v206, 0xb8b4, v214
	v_fmac_f16_e64 v197, 0x34f2, v198
	v_sub_f16_e64 v86, v226, v86
	v_fmac_f16_e64 v41, 0x34f2, v198
	v_fmac_f16_e64 v51, -0.5, v199
	v_add_f16_e64 v198, v201, v202
	v_sub_f16_e64 v201, v227, v225
	v_sub_f16_e64 v202, v229, v231
	v_fmac_f16_e64 v209, 0x34f2, v204
	v_fmac_f16_e64 v54, 0x34f2, v204
	;; [unrolled: 1-line block ×4, first 2 shown]
	v_fma_f16 v196, 0xbb9c, v83, v200
	v_fmac_f16_e64 v200, 0x3b9c, v83
	v_fma_f16 v199, 0x3b9c, v86, v51
	v_add_f16_e64 v204, v88, v87
	v_add_f16_e64 v201, v201, v202
	;; [unrolled: 1-line block ×3, first 2 shown]
	v_fmac_f16_e32 v51, 0xbb9c, v86
	v_add_f16_e64 v213, v85, v189
	v_fmac_f16_e64 v196, 0xb8b4, v86
	v_fmac_f16_e64 v200, 0x38b4, v86
	;; [unrolled: 1-line block ×3, first 2 shown]
	v_fma_f16 v204, -0.5, v204, v38
	v_sub_f16_e64 v205, v233, v240
	v_add_f16_e64 v86, v202, v88
	v_sub_f16_e64 v202, v235, v237
	v_sub_f16_e64 v211, v85, v88
	;; [unrolled: 1-line block ×3, first 2 shown]
	v_fmac_f16_e32 v51, 0x38b4, v83
	v_fma_f16 v38, -0.5, v213, v38
	v_fmac_f16_e64 v196, 0x34f2, v198
	v_fmac_f16_e64 v200, 0x34f2, v198
	;; [unrolled: 1-line block ×3, first 2 shown]
	v_fma_f16 v198, 0x3b9c, v205, v204
	v_add_f16_e32 v83, v86, v87
	v_add_f16_e64 v86, v211, v212
	v_fmac_f16_e64 v51, 0x34f2, v201
	v_fmac_f16_e64 v204, 0xbb9c, v205
	v_fma_f16 v201, 0xbb9c, v202, v38
	v_sub_f16_e64 v211, v88, v85
	v_sub_f16_e64 v212, v87, v189
	v_add_f16_e64 v213, v50, v233
	v_add_f16_e64 v214, v235, v237
	v_fmac_f16_e64 v38, 0x3b9c, v202
	v_fma_f16 v89, v89, v25, -v238
	v_fmac_f16_e64 v198, 0x38b4, v202
	v_add_f16_e64 v83, v83, v189
	v_fmac_f16_e64 v204, 0xb8b4, v202
	v_fmac_f16_e64 v201, 0x38b4, v205
	v_add_f16_e64 v211, v211, v212
	v_add_f16_e64 v202, v213, v235
	v_fma_f16 v212, -0.5, v214, v50
	v_sub_f16_e64 v85, v85, v189
	v_fmac_f16_e64 v38, 0xb8b4, v205
	v_add_f16_e64 v189, v233, v240
	v_fma_f16 v192, v192, v27, -v243
	v_fmac_f16_e64 v198, 0x34f2, v86
	v_fmac_f16_e64 v204, 0x34f2, v86
	;; [unrolled: 1-line block ×3, first 2 shown]
	v_add_f16_e64 v86, v202, v237
	v_fma_f16 v202, 0xbb9c, v85, v212
	v_sub_f16_e32 v87, v88, v87
	v_sub_f16_e64 v88, v233, v235
	v_sub_f16_e64 v205, v240, v237
	v_fmac_f16_e64 v38, 0x34f2, v211
	v_fmac_f16_e64 v50, -0.5, v189
	v_fmac_f16_e64 v212, 0x3b9c, v85
	v_sub_f16_e64 v189, v235, v233
	v_sub_f16_e64 v211, v237, v240
	v_add_f16_e64 v213, v89, v194
	v_fmac_f16_e64 v202, 0xb8b4, v87
	v_add_f16_e64 v88, v88, v205
	v_fma_f16 v205, 0x3b9c, v87, v50
	v_fmac_f16_e64 v212, 0x38b4, v87
	v_add_f16_e64 v189, v189, v211
	v_add_f16_e64 v211, v39, v191
	v_fma_f16 v213, -0.5, v213, v39
	v_sub_f16_e64 v214, v75, v78
	v_fmac_f16_e32 v50, 0xbb9c, v87
	v_add_f16_e64 v217, v191, v192
	v_fmac_f16_e64 v202, 0x34f2, v88
	v_fmac_f16_e64 v205, 0xb8b4, v85
	v_fmac_f16_e64 v212, 0x34f2, v88
	v_add_f16_e64 v87, v211, v89
	v_fma_f16 v88, 0x3b9c, v214, v213
	v_sub_f16_e64 v211, v74, v76
	v_sub_f16_e64 v215, v191, v89
	;; [unrolled: 1-line block ×3, first 2 shown]
	v_fmac_f16_e32 v50, 0x38b4, v85
	v_fmac_f16_e64 v39, -0.5, v217
	v_fmac_f16_e64 v213, 0xbb9c, v214
	v_add_f16_e64 v217, v49, v75
	v_fmac_f16_e64 v205, 0x34f2, v189
	v_add_f16_e64 v85, v87, v194
	;; [unrolled: 2-line block ×3, first 2 shown]
	v_fmac_f16_e64 v50, 0x34f2, v189
	v_fma_f16 v215, 0xbb9c, v211, v39
	v_sub_f16_e64 v189, v89, v191
	v_sub_f16_e64 v216, v194, v192
	v_fmac_f16_e64 v213, 0xb8b4, v211
	v_add_f16_e64 v218, v74, v76
	v_fmac_f16_e64 v39, 0x3b9c, v211
	v_add_f16_e64 v211, v217, v74
	v_fmac_f16_e32 v88, 0x34f2, v87
	v_add_f16_e64 v189, v189, v216
	v_fma_f16 v216, -0.5, v218, v49
	v_sub_f16_e64 v191, v191, v192
	v_fmac_f16_e64 v213, 0x34f2, v87
	v_add_f16_e64 v87, v211, v76
	v_add_f16_e64 v211, v75, v78
	v_sub_f16_e64 v89, v89, v194
	v_sub_f16_e64 v194, v75, v74
	v_sub_f16_e32 v74, v74, v75
	v_sub_f16_e32 v75, v76, v78
	v_fma_f16 v70, v70, v23, -v247
	v_add_f16_e64 v85, v85, v192
	v_fmac_f16_e64 v215, 0x38b4, v214
	v_fmac_f16_e64 v39, 0xb8b4, v214
	v_fma_f16 v192, 0xbb9c, v191, v216
	v_sub_f16_e64 v214, v78, v76
	v_fmac_f16_e64 v49, -0.5, v211
	v_fmac_f16_e64 v216, 0x3b9c, v191
	v_add_f16_e32 v76, v37, v68
	v_add_f16_e32 v74, v74, v75
	;; [unrolled: 1-line block ×3, first 2 shown]
	v_fmac_f16_e64 v215, 0x34f2, v189
	v_fmac_f16_e64 v39, 0x34f2, v189
	v_add_f16_e32 v87, v87, v78
	v_fmac_f16_e64 v192, 0xb8b4, v89
	v_add_f16_e64 v189, v194, v214
	v_fma_f16 v194, 0x3b9c, v89, v49
	v_fmac_f16_e64 v216, 0x38b4, v89
	v_fmac_f16_e32 v49, 0xbb9c, v89
	v_fma_f16 v76, -0.5, v76, v36
	v_sub_f16_e32 v78, v55, v66
	v_add_f16_e32 v75, v75, v37
	v_add_f16_e64 v214, v69, v70
	v_fmac_f16_e64 v192, 0x34f2, v189
	v_fmac_f16_e64 v194, 0xb8b4, v191
	;; [unrolled: 1-line block ×4, first 2 shown]
	v_fmamk_f16 v89, v78, 0x3b9c, v76
	v_sub_f16_e64 v189, v63, v67
	v_sub_f16_e64 v191, v69, v37
	;; [unrolled: 1-line block ×3, first 2 shown]
	v_fmac_f16_e32 v76, 0xbb9c, v78
	v_add_f16_e32 v75, v75, v68
	v_fmac_f16_e64 v36, -0.5, v214
	v_fmac_f16_e64 v194, 0x34f2, v74
	v_fmac_f16_e64 v89, 0x38b4, v189
	v_add_f16_e64 v191, v191, v211
	v_fmac_f16_e64 v76, 0xb8b4, v189
	v_fmac_f16_e32 v49, 0x34f2, v74
	v_add_f16_e32 v74, v75, v70
	v_fma_f16 v75, 0xbb9c, v189, v36
	v_fmac_f16_e64 v36, 0x3b9c, v189
	v_add_f16_e64 v189, v48, v55
	v_fmac_f16_e64 v89, 0x34f2, v191
	v_fmac_f16_e64 v76, 0x34f2, v191
	v_add_f16_e64 v191, v63, v67
	v_sub_f16_e64 v211, v37, v69
	v_sub_f16_e64 v214, v68, v70
	v_fmac_f16_e32 v75, 0x38b4, v78
	v_fmac_f16_e32 v36, 0xb8b4, v78
	v_add_f16_e64 v78, v189, v63
	v_add_f16_e64 v189, v55, v66
	v_fma_f16 v217, -0.5, v191, v48
	v_sub_f16_e32 v69, v69, v70
	v_add_f16_e64 v70, v211, v214
	v_sub_f16_e32 v37, v37, v68
	v_fmac_f16_e64 v48, -0.5, v189
	v_add_f16_e32 v68, v78, v67
	v_fma_f16 v211, 0xbb9c, v69, v217
	v_fmac_f16_e32 v75, 0x34f2, v70
	v_fmac_f16_e32 v36, 0x34f2, v70
	v_sub_f16_e32 v70, v55, v63
	v_fmac_f16_e64 v217, 0x3b9c, v69
	v_fma_f16 v214, 0x3b9c, v37, v48
	v_sub_f16_e32 v55, v63, v55
	v_sub_f16_e32 v63, v67, v66
	v_fmac_f16_e32 v48, 0xbb9c, v37
	v_fmac_f16_e64 v211, 0xb8b4, v37
	v_sub_f16_e32 v78, v66, v67
	v_fmac_f16_e64 v217, 0x38b4, v37
	v_fmac_f16_e64 v214, 0xb8b4, v69
	v_add_f16_e32 v37, v55, v63
	v_fmac_f16_e32 v48, 0x38b4, v69
	v_add_f16_e32 v67, v70, v78
	v_pack_b32_f16 v63, v80, v208
	v_add_f16_e64 v84, v84, v231
	v_fmac_f16_e64 v214, 0x34f2, v37
	v_fmac_f16_e32 v48, 0x34f2, v37
	v_pack_b32_f16 v37, v79, v82
	v_add_f16_e64 v86, v86, v240
	v_add_f16_e32 v55, v68, v66
	v_fmac_f16_e64 v211, 0x34f2, v67
	v_fmac_f16_e64 v217, 0x34f2, v67
	ds_store_2addr_b32 v91, v37, v63 offset1:55
	v_pack_b32_f16 v37, v207, v209
	v_pack_b32_f16 v40, v40, v54
	;; [unrolled: 1-line block ×4, first 2 shown]
	v_lshlrev_b32_e32 v189, 2, v47
	v_pack_b32_f16 v54, v195, v203
	v_pack_b32_f16 v63, v90, v84
	;; [unrolled: 1-line block ×4, first 2 shown]
	ds_store_2addr_b32 v91, v37, v40 offset0:110 offset1:165
	ds_store_2addr_b32 v72, v54, v63 offset0:92 offset1:147
	;; [unrolled: 1-line block ×4, first 2 shown]
	v_pack_b32_f16 v37, v83, v86
	v_pack_b32_f16 v40, v198, v202
	v_add_nc_u32_e32 v41, 0x800, v189
	v_lshlrev_b32_e32 v191, 2, v46
	v_pack_b32_f16 v46, v201, v205
	v_pack_b32_f16 v38, v38, v50
	v_pack_b32_f16 v50, v88, v192
	v_lshlrev_b32_e32 v192, 2, v45
	v_add_nc_u32_e32 v51, 0xc00, v191
	ds_store_2addr_b32 v41, v37, v40 offset0:38 offset1:93
	ds_store_2addr_b32 v41, v46, v38 offset0:148 offset1:203
	v_pack_b32_f16 v38, v215, v194
	v_pack_b32_f16 v39, v39, v49
	;; [unrolled: 1-line block ×5, first 2 shown]
	v_add_nc_u32_e32 v45, 0x1000, v192
	v_pack_b32_f16 v46, v75, v214
	v_pack_b32_f16 v36, v36, v48
	;; [unrolled: 1-line block ×3, first 2 shown]
	ds_store_2addr_b32 v51, v38, v39 offset0:167 offset1:222
	v_pack_b32_f16 v38, v213, v216
	v_pack_b32_f16 v39, v76, v217
	ds_store_2addr_b32 v51, v47, v50 offset0:57 offset1:112
	ds_store_2addr_b32 v45, v40, v41 offset0:76 offset1:131
	ds_store_2addr_b32 v45, v46, v36 offset0:186 offset1:241
	ds_store_b32 v189, v37 offset:3080
	ds_store_b32 v191, v38 offset:4180
	;; [unrolled: 1-line block ×3, first 2 shown]
	v_lshlrev_b32_e32 v36, 4, v43
	global_wb scope:SCOPE_SE
	s_wait_dscnt 0x0
	s_barrier_signal -1
	s_barrier_wait -1
	global_inv scope:SCOPE_SE
	s_clause 0x1
	global_load_b128 v[48:51], v44, s[0:1] offset:1056
	global_load_b128 v[44:47], v36, s[0:1] offset:1056
	v_lshlrev_b32_e32 v36, 4, v42
	global_load_b128 v[40:43], v36, s[0:1] offset:1056
	v_lshlrev_b32_e32 v36, 4, v53
	s_clause 0x1
	global_load_b128 v[52:55], v52, s[0:1] offset:1056
	global_load_b128 v[36:39], v36, s[0:1] offset:1056
	ds_load_2addr_b32 v[74:75], v91 offset1:55
	ds_load_2addr_b32 v[66:67], v72 offset0:92 offset1:147
	ds_load_2addr_b32 v[78:79], v71 offset0:38 offset1:93
	;; [unrolled: 1-line block ×9, first 2 shown]
	s_add_nc_u64 s[0:1], s[12:13], 0x157c
	s_wait_dscnt 0x9
	v_lshrrev_b32_e32 v63, 16, v74
	s_wait_dscnt 0x8
	v_lshrrev_b32_e32 v70, 16, v67
	;; [unrolled: 2-line block ×6, first 2 shown]
	v_lshrrev_b32_e32 v208, 16, v79
	v_lshrrev_b32_e32 v210, 16, v85
	s_wait_dscnt 0x3
	v_lshrrev_b32_e32 v209, 16, v88
	v_lshrrev_b32_e32 v204, 16, v75
	;; [unrolled: 1-line block ×3, first 2 shown]
	s_wait_dscnt 0x2
	v_lshrrev_b32_e32 v212, 16, v202
	v_lshrrev_b32_e32 v213, 16, v89
	s_wait_dscnt 0x0
	v_lshrrev_b32_e32 v230, 16, v207
	v_lshrrev_b32_e32 v236, 16, v82
	s_wait_loadcnt 0x4
	v_lshrrev_b32_e32 v201, 16, v48
	v_lshrrev_b32_e32 v200, 16, v49
	;; [unrolled: 1-line block ×4, first 2 shown]
	s_wait_loadcnt 0x3
	v_lshrrev_b32_e32 v197, 16, v44
	v_mul_f16_e64 v215, v67, v201
	v_mul_f16_e64 v216, v76, v200
	;; [unrolled: 1-line block ×4, first 2 shown]
	v_lshrrev_b32_e32 v196, 16, v45
	v_lshrrev_b32_e32 v194, 16, v47
	v_mul_f16_e64 v214, v70, v201
	v_mul_f16_e64 v220, v90, v198
	;; [unrolled: 1-line block ×3, first 2 shown]
	v_fmac_f16_e64 v215, v70, v48
	v_fmac_f16_e64 v217, v76, v49
	v_fma_f16 v70, v78, v49, -v216
	v_fma_f16 v76, v83, v50, -v218
	v_lshrrev_b32_e32 v195, 16, v46
	v_mul_f16_e64 v219, v83, v199
	v_mul_f16_e64 v222, v205, v197
	;; [unrolled: 1-line block ×5, first 2 shown]
	v_fma_f16 v67, v67, v48, -v214
	v_fma_f16 v78, v84, v51, -v220
	v_fmac_f16_e64 v221, v90, v51
	v_add_f16_e32 v83, v70, v76
	v_mul_f16_e64 v223, v86, v197
	v_mul_f16_e64 v227, v88, v195
	;; [unrolled: 1-line block ×3, first 2 shown]
	v_fmac_f16_e64 v219, v80, v50
	v_fma_f16 v80, v86, v44, -v222
	v_fma_f16 v86, v79, v45, -v224
	v_fmac_f16_e64 v225, v208, v45
	v_fmac_f16_e64 v229, v210, v47
	v_add_f16_e32 v79, v74, v67
	v_sub_f16_e64 v84, v215, v221
	v_add_f16_e64 v208, v67, v78
	v_fma_f16 v210, -0.5, v83, v74
	v_mul_f16_e64 v226, v209, v195
	v_fmac_f16_e64 v223, v205, v44
	v_fmac_f16_e64 v227, v209, v46
	v_sub_f16_e64 v90, v217, v219
	v_sub_f16_e64 v205, v67, v70
	;; [unrolled: 1-line block ×3, first 2 shown]
	v_fma_f16 v220, 0x3b9c, v84, v210
	v_fmac_f16_e64 v210, 0xbb9c, v84
	v_fma_f16 v74, -0.5, v208, v74
	v_add_f16_e32 v79, v79, v70
	v_sub_f16_e32 v83, v70, v67
	v_sub_f16_e64 v214, v76, v78
	v_add_f16_e64 v216, v217, v219
	v_add_f16_e64 v218, v63, v215
	v_add_f16_e64 v205, v205, v209
	v_fmac_f16_e64 v220, 0x38b4, v90
	v_fmac_f16_e64 v210, 0xb8b4, v90
	v_fma_f16 v208, 0xbb9c, v90, v74
	v_add_f16_e32 v79, v79, v76
	v_fmac_f16_e32 v74, 0x3b9c, v90
	v_fmac_f16_e64 v220, 0x34f2, v205
	v_fmac_f16_e64 v210, 0x34f2, v205
	v_fma_f16 v90, -0.5, v216, v63
	v_add_f16_e64 v205, v79, v78
	v_sub_f16_e32 v67, v67, v78
	v_fmac_f16_e64 v208, 0x38b4, v84
	v_add_f16_e64 v78, v83, v214
	v_fmac_f16_e32 v74, 0xb8b4, v84
	v_add_f16_e64 v79, v218, v217
	v_add_f16_e64 v83, v215, v221
	v_fma_f16 v88, v88, v46, -v226
	v_fma_f16 v85, v85, v47, -v228
	v_fma_f16 v209, 0xbb9c, v67, v90
	v_sub_f16_e32 v70, v70, v76
	v_fmac_f16_e64 v208, 0x34f2, v78
	v_fmac_f16_e32 v74, 0x34f2, v78
	v_add_f16_e64 v76, v79, v219
	v_fmac_f16_e32 v63, -0.5, v83
	v_sub_f16_e64 v78, v215, v217
	v_sub_f16_e64 v79, v221, v219
	v_fmac_f16_e32 v90, 0x3b9c, v67
	v_sub_f16_e64 v83, v217, v215
	v_sub_f16_e64 v84, v219, v221
	v_fmac_f16_e64 v209, 0xb8b4, v70
	v_fma_f16 v214, 0x3b9c, v70, v63
	v_fmac_f16_e32 v63, 0xbb9c, v70
	v_add_f16_e32 v78, v78, v79
	v_fmac_f16_e32 v90, 0x38b4, v70
	v_add_f16_e32 v70, v83, v84
	v_sub_f16_e32 v79, v86, v80
	v_sub_f16_e32 v83, v88, v85
	v_fmac_f16_e64 v214, 0xb8b4, v67
	v_fmac_f16_e32 v63, 0x38b4, v67
	v_add_f16_e64 v67, v76, v221
	v_fmac_f16_e64 v209, 0x34f2, v78
	v_fmac_f16_e32 v90, 0x34f2, v78
	v_add_f16_e32 v76, v86, v88
	v_add_f16_e32 v78, v80, v85
	v_add_f16_e64 v215, v79, v83
	v_add_f16_e64 v83, v204, v223
	v_fmac_f16_e64 v214, 0x34f2, v70
	v_fmac_f16_e32 v63, 0x34f2, v70
	v_add_f16_e32 v70, v75, v80
	v_fma_f16 v76, -0.5, v76, v75
	v_add_f16_e64 v84, v225, v227
	v_fmac_f16_e32 v75, -0.5, v78
	v_add_f16_e64 v78, v223, v229
	v_add_f16_e64 v218, v83, v225
	v_add_f16_e32 v70, v70, v86
	v_fma_f16 v217, -0.5, v84, v204
	v_pack_b32_f16 v67, v205, v67
	v_fmac_f16_e64 v204, -0.5, v78
	v_add_f16_e64 v205, v218, v227
	v_sub_f16_e64 v218, v225, v227
	v_pack_b32_f16 v63, v74, v63
	v_sub_f16_e32 v74, v86, v88
	v_sub_f16_e64 v84, v225, v223
	v_sub_f16_e64 v216, v227, v229
	v_add_f16_e32 v70, v70, v88
	v_pack_b32_f16 v209, v220, v209
	v_sub_f16_e64 v219, v223, v229
	v_fma_f16 v220, 0xbb9c, v218, v75
	v_fmac_f16_e64 v75, 0x3b9c, v218
	v_sub_f16_e64 v221, v80, v85
	v_fma_f16 v222, 0x3b9c, v74, v204
	v_fmac_f16_e64 v204, 0xbb9c, v74
	v_add_f16_e64 v216, v84, v216
	v_add_f16_e32 v70, v70, v85
	v_pack_b32_f16 v214, v208, v214
	v_add_f16_e64 v205, v205, v229
	s_wait_loadcnt 0x2
	v_lshrrev_b32_e32 v208, 16, v40
	v_fmac_f16_e64 v75, 0xb8b4, v219
	v_fmac_f16_e64 v204, 0x38b4, v221
	v_pack_b32_f16 v90, v210, v90
	ds_load_2addr_b32 v[78:79], v73 offset0:184 offset1:239
	ds_load_2addr_b32 v[83:84], v81 offset0:94 offset1:149
	v_pack_b32_f16 v70, v70, v205
	ds_load_b32 v224, v91 offset:5280
	ds_store_b32 v91, v209 offset:1100
	ds_store_b32 v91, v214 offset:2200
	;; [unrolled: 1-line block ×4, first 2 shown]
	v_mul_f16_e64 v63, v211, v208
	v_lshrrev_b32_e32 v210, 16, v41
	v_fmac_f16_e64 v75, 0x34f2, v215
	v_fmac_f16_e64 v204, 0x34f2, v216
	ds_store_2addr_b32 v91, v67, v70 offset1:55
	v_lshrrev_b32_e32 v209, 16, v42
	v_fma_f16 v63, v87, v40, -v63
	v_mul_f16_e64 v67, v87, v208
	v_mul_f16_e64 v70, v202, v210
	v_pack_b32_f16 v75, v75, v204
	v_lshrrev_b32_e32 v87, 16, v203
	s_wait_loadcnt 0x0
	v_lshrrev_b32_e32 v204, 16, v37
	v_mul_f16_e64 v205, v212, v210
	v_mul_f16_e64 v90, v213, v209
	v_fmac_f16_e64 v67, v211, v40
	v_fmac_f16_e64 v70, v212, v41
	v_mul_f16_e64 v212, v87, v204
	v_fma_f16 v214, v202, v41, -v205
	v_mul_f16_e64 v226, v203, v204
	v_lshrrev_b32_e32 v211, 16, v43
	v_lshrrev_b32_e32 v202, 16, v206
	v_fma_f16 v90, v89, v42, -v90
	v_mul_f16_e64 v89, v89, v209
	v_fma_f16 v228, v203, v37, -v212
	v_fmac_f16_e64 v226, v87, v37
	v_mul_f16_e64 v87, v206, v211
	v_mul_f16_e64 v203, v202, v211
	v_lshrrev_b32_e32 v205, 16, v39
	v_lshrrev_b32_e32 v212, 16, v36
	v_fmac_f16_e64 v89, v213, v42
	s_wait_dscnt 0x7
	v_lshrrev_b32_e32 v213, 16, v78
	v_fmac_f16_e64 v87, v202, v43
	v_fma_f16 v231, v206, v43, -v203
	v_mul_f16_e64 v202, v230, v205
	v_mul_f16_e64 v232, v78, v212
	v_lshrrev_b32_e32 v233, 16, v79
	v_lshrrev_b32_e32 v206, 16, v52
	v_mul_f16_e64 v203, v213, v212
	v_fma_f16 v234, v207, v39, -v202
	v_fmac_f16_e64 v232, v213, v36
	s_wait_dscnt 0x6
	v_lshrrev_b32_e32 v237, 16, v83
	v_mul_f16_e64 v202, v233, v206
	v_lshrrev_b32_e32 v213, 16, v38
	v_mul_f16_e64 v235, v207, v205
	s_wait_dscnt 0x5
	v_lshrrev_b32_e32 v243, 16, v224
	v_sub_f16_e32 v80, v80, v86
	v_fma_f16 v240, v79, v52, -v202
	v_mul_f16_e64 v202, v237, v213
	v_mul_f16_e64 v79, v79, v206
	v_fmac_f16_e64 v235, v230, v39
	v_sub_f16_e32 v85, v85, v88
	v_fma_f16 v88, 0x3b9c, v219, v76
	v_fma_f16 v242, v83, v38, -v202
	v_lshrrev_b32_e32 v202, 16, v55
	v_fmac_f16_e64 v79, v233, v52
	v_add_f16_e32 v80, v80, v85
	v_fmac_f16_e64 v76, 0xbb9c, v219
	v_sub_f16_e64 v85, v223, v225
	v_mul_f16_e64 v230, v243, v202
	v_mul_f16_e64 v233, v224, v202
	v_sub_f16_e64 v223, v229, v227
	v_fmac_f16_e64 v88, 0x38b4, v218
	v_fmac_f16_e64 v76, 0xb8b4, v218
	v_fma_f16 v86, v224, v55, -v230
	v_fma_f16 v224, 0xbb9c, v221, v217
	v_fmac_f16_e64 v217, 0x3b9c, v221
	v_fmac_f16_e64 v220, 0x38b4, v219
	v_add_f16_e64 v85, v85, v223
	v_add_f16_e64 v218, v214, v90
	v_fmac_f16_e64 v224, 0xb8b4, v74
	v_fmac_f16_e64 v217, 0x38b4, v74
	v_add_f16_e64 v219, v63, v231
	v_fmac_f16_e32 v88, 0x34f2, v80
	v_fmac_f16_e32 v76, 0x34f2, v80
	v_fmac_f16_e64 v220, 0x34f2, v215
	v_fma_f16 v74, -0.5, v218, v68
	v_sub_f16_e32 v80, v67, v87
	v_fmac_f16_e64 v224, 0x34f2, v85
	v_fmac_f16_e64 v217, 0x34f2, v85
	v_sub_f16_e64 v85, v63, v214
	v_sub_f16_e64 v215, v231, v90
	;; [unrolled: 1-line block ×3, first 2 shown]
	v_fma_f16 v219, -0.5, v219, v68
	v_fma_f16 v218, 0x3b9c, v80, v74
	v_fmac_f16_e64 v222, 0xb8b4, v221
	v_add_f16_e64 v85, v85, v215
	v_fmac_f16_e32 v74, 0xbb9c, v80
	v_sub_f16_e64 v215, v214, v63
	v_sub_f16_e64 v221, v90, v231
	v_fma_f16 v227, 0xbb9c, v223, v219
	v_fmac_f16_e64 v219, 0x3b9c, v223
	v_fmac_f16_e64 v218, 0x38b4, v223
	v_add_f16_e64 v225, v68, v63
	v_fmac_f16_e64 v74, 0xb8b4, v223
	v_add_f16_e64 v215, v215, v221
	v_fmac_f16_e64 v227, 0x38b4, v80
	v_fmac_f16_e64 v219, 0xb8b4, v80
	v_lshrrev_b32_e32 v68, 16, v68
	v_add_f16_e64 v221, v225, v214
	v_fmac_f16_e64 v218, 0x34f2, v85
	v_fmac_f16_e32 v74, 0x34f2, v85
	v_fmac_f16_e64 v227, 0x34f2, v215
	v_fmac_f16_e64 v219, 0x34f2, v215
	v_add_f16_e32 v85, v68, v67
	v_add_f16_e64 v215, v70, v89
	v_fmac_f16_e64 v222, 0x34f2, v216
	v_add_f16_e64 v80, v221, v90
	v_sub_f16_e64 v63, v63, v231
	v_sub_f16_e64 v216, v67, v70
	;; [unrolled: 1-line block ×3, first 2 shown]
	v_add_f16_e32 v85, v85, v70
	v_fma_f16 v223, -0.5, v215, v68
	v_sub_f16_e64 v90, v214, v90
	v_add_f16_e64 v214, v67, v87
	v_fma_f16 v78, v78, v36, -v203
	v_add_f16_e64 v215, v216, v221
	v_add_f16_e32 v85, v85, v89
	v_fma_f16 v221, 0xbb9c, v63, v223
	v_fmac_f16_e64 v223, 0x3b9c, v63
	v_fmac_f16_e64 v68, -0.5, v214
	v_mul_f16_e64 v83, v83, v213
	v_sub_f16_e32 v67, v70, v67
	v_add_f16_e32 v70, v85, v87
	v_fmac_f16_e64 v221, 0xb8b4, v90
	v_fmac_f16_e64 v223, 0x38b4, v90
	v_sub_f16_e32 v85, v89, v87
	v_fmamk_f16 v87, v90, 0x3b9c, v68
	v_fmac_f16_e32 v68, 0xbb9c, v90
	v_sub_f16_e64 v89, v78, v228
	v_sub_f16_e64 v90, v234, v242
	v_fmac_f16_e64 v83, v237, v38
	v_add_f16_e32 v67, v67, v85
	v_add_f16_e64 v85, v228, v242
	v_fmac_f16_e64 v221, 0x34f2, v215
	v_add_f16_e32 v89, v89, v90
	v_add_f16_e64 v90, v78, v234
	v_fmac_f16_e64 v223, 0x34f2, v215
	v_fmac_f16_e32 v87, 0xb8b4, v63
	v_fmac_f16_e32 v68, 0x38b4, v63
	v_fma_f16 v85, -0.5, v85, v69
	v_sub_f16_e64 v63, v232, v235
	v_lshrrev_b32_e32 v225, 16, v69
	v_add_f16_e64 v214, v69, v78
	v_sub_f16_e64 v215, v226, v83
	v_fmac_f16_e32 v69, -0.5, v90
	v_fma_f16 v229, 0x3b9c, v63, v85
	v_fmac_f16_e32 v85, 0xbb9c, v63
	v_add_f16_e64 v214, v214, v228
	v_sub_f16_e64 v90, v228, v78
	v_fma_f16 v230, 0xbb9c, v215, v69
	v_fmac_f16_e64 v69, 0x3b9c, v215
	v_fmac_f16_e64 v229, 0x38b4, v215
	;; [unrolled: 1-line block ×3, first 2 shown]
	v_sub_f16_e64 v216, v242, v234
	v_fmac_f16_e64 v230, 0x38b4, v63
	v_fmac_f16_e32 v69, 0xb8b4, v63
	v_add_f16_e64 v63, v214, v242
	v_fmac_f16_e32 v87, 0x34f2, v67
	v_fmac_f16_e32 v68, 0x34f2, v67
	v_fmac_f16_e64 v229, 0x34f2, v89
	v_fmac_f16_e32 v85, 0x34f2, v89
	v_add_f16_e64 v89, v63, v234
	v_add_f16_e64 v63, v225, v232
	;; [unrolled: 1-line block ×3, first 2 shown]
	v_lshrrev_b32_e32 v207, 16, v53
	v_lshrrev_b32_e32 v238, 16, v84
	;; [unrolled: 1-line block ×3, first 2 shown]
	v_add_f16_e64 v80, v80, v231
	v_add_f16_e64 v90, v90, v216
	v_sub_f16_e64 v78, v78, v234
	v_add_f16_e64 v63, v63, v226
	v_fma_f16 v231, -0.5, v67, v225
	v_add_f16_e64 v215, v232, v235
	v_mul_f16_e64 v239, v236, v207
	v_mul_f16_e64 v241, v238, v203
	v_fmac_f16_e64 v230, 0x34f2, v90
	v_fmac_f16_e32 v69, 0x34f2, v90
	v_sub_f16_e64 v90, v232, v226
	v_sub_f16_e64 v214, v235, v83
	;; [unrolled: 1-line block ×3, first 2 shown]
	v_add_f16_e32 v63, v63, v83
	v_fma_f16 v228, 0xbb9c, v78, v231
	v_fmac_f16_e64 v231, 0x3b9c, v78
	v_fmac_f16_e64 v225, -0.5, v215
	v_fma_f16 v239, v82, v53, -v239
	v_mul_f16_e64 v82, v82, v207
	v_fma_f16 v241, v84, v54, -v241
	v_mul_f16_e64 v84, v84, v203
	v_add_f16_e64 v90, v90, v214
	v_sub_f16_e64 v214, v226, v232
	v_add_f16_e64 v226, v63, v235
	v_fmac_f16_e64 v228, 0xb8b4, v67
	v_fmac_f16_e64 v231, 0x38b4, v67
	v_sub_f16_e64 v63, v83, v235
	v_fma_f16 v83, 0x3b9c, v67, v225
	v_fmac_f16_e64 v225, 0xbb9c, v67
	v_fmac_f16_e64 v82, v236, v53
	;; [unrolled: 1-line block ×6, first 2 shown]
	v_add_f16_e64 v90, v214, v63
	v_add_f16_e64 v63, v239, v241
	v_fmac_f16_e32 v83, 0xb8b4, v78
	v_fmac_f16_e64 v225, 0x38b4, v78
	v_add_f16_e64 v78, v240, v86
	v_sub_f16_e64 v67, v240, v239
	v_sub_f16_e64 v214, v86, v241
	v_fma_f16 v63, -0.5, v63, v66
	v_sub_f16_e64 v216, v79, v233
	v_lshrrev_b32_e32 v215, 16, v66
	v_add_f16_e64 v232, v66, v240
	v_fmac_f16_e32 v66, -0.5, v78
	v_sub_f16_e32 v78, v82, v84
	v_add_f16_e64 v214, v67, v214
	v_fma_f16 v234, 0x3b9c, v216, v63
	v_fmac_f16_e64 v63, 0xbb9c, v216
	v_sub_f16_e64 v235, v239, v240
	v_sub_f16_e64 v236, v241, v86
	v_fmamk_f16 v67, v78, 0xbb9c, v66
	v_fmac_f16_e32 v66, 0x3b9c, v78
	v_fmac_f16_e64 v234, 0x38b4, v78
	v_fmac_f16_e32 v63, 0xb8b4, v78
	v_add_f16_e64 v78, v235, v236
	v_fmac_f16_e64 v67, 0x38b4, v216
	v_fmac_f16_e64 v66, 0xb8b4, v216
	v_add_f16_e64 v232, v232, v239
	v_fmac_f16_e32 v83, 0x34f2, v90
	v_fmac_f16_e64 v225, 0x34f2, v90
	v_fmac_f16_e32 v67, 0x34f2, v78
	v_fmac_f16_e32 v66, 0x34f2, v78
	v_add_f16_e32 v78, v82, v84
	v_add_f16_e64 v90, v232, v241
	v_fmac_f16_e64 v234, 0x34f2, v214
	v_fmac_f16_e64 v63, 0x34f2, v214
	v_sub_f16_e64 v214, v79, v82
	v_fma_f16 v216, -0.5, v78, v215
	v_add_f16_e64 v78, v79, v233
	v_sub_f16_e64 v232, v233, v84
	v_add_f16_e64 v235, v215, v79
	v_sub_f16_e64 v236, v239, v241
	v_add_f16_e32 v90, v90, v86
	v_fmac_f16_e64 v215, -0.5, v78
	v_sub_f16_e64 v86, v240, v86
	v_add_f16_e64 v232, v214, v232
	v_add_f16_e64 v78, v235, v82
	v_sub_f16_e32 v79, v82, v79
	v_sub_f16_e64 v82, v84, v233
	v_fma_f16 v214, 0x3b9c, v236, v215
	v_fmac_f16_e64 v215, 0xbb9c, v236
	v_fma_f16 v237, 0xbb9c, v86, v216
	v_fmac_f16_e64 v216, 0x3b9c, v86
	v_add_f16_e32 v78, v78, v84
	v_add_f16_e32 v79, v79, v82
	v_fmac_f16_e64 v214, 0xb8b4, v86
	v_fmac_f16_e64 v215, 0x38b4, v86
	;; [unrolled: 1-line block ×4, first 2 shown]
	v_add_f16_e64 v78, v78, v233
	v_fmac_f16_e64 v214, 0x34f2, v79
	v_fmac_f16_e64 v215, 0x34f2, v79
	v_pack_b32_f16 v79, v88, v224
	v_pack_b32_f16 v70, v80, v70
	v_pack_b32_f16 v80, v218, v221
	v_fmac_f16_e64 v237, 0x34f2, v232
	v_pack_b32_f16 v82, v220, v222
	v_pack_b32_f16 v84, v227, v87
	;; [unrolled: 1-line block ×5, first 2 shown]
	v_fmac_f16_e64 v216, 0x34f2, v232
	v_pack_b32_f16 v86, v89, v226
	ds_store_2addr_b32 v73, v79, v80 offset0:74 offset1:129
	ds_store_2addr_b32 v71, v82, v84 offset0:93 offset1:148
	;; [unrolled: 1-line block ×5, first 2 shown]
	v_pack_b32_f16 v76, v90, v78
	v_pack_b32_f16 v70, v229, v228
	;; [unrolled: 1-line block ×5, first 2 shown]
	v_add_nc_u32_e32 v68, 0xa00, v91
	v_pack_b32_f16 v69, v69, v225
	v_pack_b32_f16 v80, v66, v215
	v_pack_b32_f16 v75, v85, v231
	v_pack_b32_f16 v82, v63, v216
	v_add_nc_u32_e32 v87, 0x1200, v91
	ds_store_b32 v91, v76 offset:880
	ds_store_2addr_b32 v73, v70, v78 offset0:184 offset1:239
	ds_store_2addr_b32 v68, v74, v79 offset0:75 offset1:130
	;; [unrolled: 1-line block ×4, first 2 shown]
	global_wb scope:SCOPE_SE
	s_wait_dscnt 0x0
	s_barrier_signal -1
	s_barrier_wait -1
	global_inv scope:SCOPE_SE
	s_clause 0x15
	global_load_b32 v74, v[56:57], off offset:5500
	global_load_b32 v76, v91, s[0:1] offset:500
	global_load_b32 v80, v91, s[0:1] offset:1000
	;; [unrolled: 1-line block ×21, first 2 shown]
	ds_load_2addr_b32 v[69:70], v91 offset1:55
	s_wait_dscnt 0x0
	v_lshrrev_b32_e32 v75, 16, v69
	s_wait_loadcnt 0x14
	v_lshrrev_b32_e32 v84, 16, v76
	s_wait_loadcnt 0x13
	;; [unrolled: 2-line block ×4, first 2 shown]
	v_lshrrev_b32_e32 v237, 16, v218
	v_lshrrev_b32_e32 v78, 16, v74
	s_delay_alu instid0(VALU_DEP_1) | instskip(SKIP_1) | instid1(VALU_DEP_2)
	v_mul_f16_e32 v79, v75, v78
	v_mul_f16_e32 v78, v69, v78
	v_fma_f16 v69, v69, v74, -v79
	s_delay_alu instid0(VALU_DEP_2) | instskip(NEXT) | instid1(VALU_DEP_1)
	v_fmac_f16_e32 v78, v75, v74
	v_pack_b32_f16 v69, v69, v78
	ds_store_b32 v91, v69
	ds_load_2addr_b32 v[74:75], v91 offset0:125 offset1:180
	ds_load_2addr_b32 v[78:79], v72 offset0:122 offset1:177
	;; [unrolled: 1-line block ×3, first 2 shown]
	s_wait_dscnt 0x2
	v_lshrrev_b32_e32 v69, 16, v74
	v_mul_f16_e64 v232, v74, v84
	s_wait_dscnt 0x1
	v_lshrrev_b32_e32 v233, 16, v78
	s_delay_alu instid0(VALU_DEP_3) | instskip(NEXT) | instid1(VALU_DEP_3)
	v_mul_f16_e32 v85, v69, v84
	v_fmac_f16_e64 v232, v69, v76
	s_delay_alu instid0(VALU_DEP_3) | instskip(SKIP_1) | instid1(VALU_DEP_4)
	v_mul_f16_e64 v69, v233, v234
	v_mul_f16_e64 v234, v78, v234
	v_fma_f16 v235, v74, v76, -v85
	v_add_nc_u32_e32 v74, 0x600, v91
	v_lshrrev_b32_e32 v76, 16, v70
	v_fma_f16 v78, v78, v80, -v69
	v_fmac_f16_e64 v234, v233, v80
	v_pack_b32_f16 v232, v235, v232
	ds_load_2addr_b32 v[84:85], v74 offset0:116 offset1:171
	v_mul_f16_e64 v69, v76, v236
	v_mul_f16_e64 v235, v70, v236
	s_wait_dscnt 0x1
	v_lshrrev_b32_e32 v80, 16, v82
	v_lshrrev_b32_e32 v233, 16, v89
	v_pack_b32_f16 v78, v78, v234
	v_fma_f16 v236, v70, v88, -v69
	v_fmac_f16_e64 v235, v76, v88
	ds_load_2addr_b32 v[69:70], v71 offset0:113 offset1:168
	v_lshrrev_b32_e32 v76, 16, v75
	v_lshrrev_b32_e32 v88, 16, v217
	v_mul_f16_e64 v234, v80, v233
	v_pack_b32_f16 v235, v236, v235
	v_mul_f16_e64 v233, v82, v233
	s_delay_alu instid0(VALU_DEP_4) | instskip(NEXT) | instid1(VALU_DEP_4)
	v_mul_f16_e64 v236, v76, v88
	v_fma_f16 v82, v82, v89, -v234
	ds_store_2addr_b32 v91, v235, v232 offset0:55 offset1:125
	v_fmac_f16_e64 v233, v80, v89
	v_mul_f16_e64 v234, v75, v88
	s_wait_dscnt 0x2
	v_lshrrev_b32_e32 v238, 16, v84
	v_mul_f16_e64 v80, v84, v237
	ds_load_2addr_b32 v[88:89], v68 offset0:110 offset1:165
	v_fma_f16 v235, v75, v217, -v236
	v_fmac_f16_e64 v234, v76, v217
	v_mul_f16_e64 v232, v238, v237
	v_fmac_f16_e64 v80, v238, v218
	v_lshrrev_b32_e32 v217, 16, v79
	s_wait_dscnt 0x2
	v_lshrrev_b32_e32 v76, 16, v69
	v_pack_b32_f16 v82, v82, v233
	v_fma_f16 v75, v84, v218, -v232
	s_wait_loadcnt 0xc
	v_lshrrev_b32_e32 v84, 16, v219
	v_lshrrev_b32_e32 v218, 16, v90
	v_pack_b32_f16 v234, v235, v234
	v_pack_b32_f16 v80, v75, v80
	s_delay_alu instid0(VALU_DEP_4)
	v_mul_f16_e64 v232, v69, v84
	v_mul_f16_e32 v84, v76, v84
	v_mul_f16_e64 v233, v217, v218
	v_mul_f16_e64 v218, v79, v218
	ds_store_2addr_b32 v91, v234, v78 offset0:180 offset1:250
	v_fmac_f16_e64 v232, v76, v219
	ds_load_2addr_b32 v[75:76], v77 offset0:107 offset1:162
	v_fma_f16 v79, v79, v90, -v233
	s_wait_loadcnt 0xb
	v_lshrrev_b32_e32 v233, 16, v220
	s_wait_dscnt 0x2
	v_lshrrev_b32_e32 v235, 16, v88
	v_fmac_f16_e64 v218, v217, v90
	v_fma_f16 v69, v69, v219, -v84
	v_lshrrev_b32_e32 v90, 16, v83
	v_lshrrev_b32_e32 v217, 16, v86
	v_mul_f16_e64 v78, v235, v233
	v_pack_b32_f16 v79, v79, v218
	v_lshrrev_b32_e32 v218, 16, v85
	s_wait_loadcnt 0x6
	v_lshrrev_b32_e32 v219, 16, v225
	v_mul_f16_e64 v84, v88, v233
	v_fma_f16 v88, v88, v220, -v78
	ds_store_2addr_b32 v73, v79, v82 offset0:49 offset1:119
	v_mul_f16_e64 v78, v90, v217
	v_lshrrev_b32_e32 v79, 16, v222
	v_mul_f16_e64 v233, v218, v219
	v_mul_f16_e64 v219, v85, v219
	v_pack_b32_f16 v69, v69, v232
	s_wait_dscnt 0x1
	v_lshrrev_b32_e32 v82, 16, v75
	v_fmac_f16_e64 v84, v235, v220
	v_fma_f16 v220, v83, v86, -v78
	v_mul_f16_e64 v217, v83, v217
	v_mul_f16_e64 v232, v75, v79
	v_mul_f16_e32 v83, v82, v79
	ds_load_2addr_b32 v[78:79], v81 offset0:104 offset1:159
	v_fma_f16 v85, v85, v225, -v233
	v_fmac_f16_e64 v219, v218, v225
	v_fmac_f16_e64 v232, v82, v222
	v_fma_f16 v75, v75, v222, -v83
	v_fmac_f16_e64 v217, v90, v86
	ds_load_2addr_b32 v[82:83], v61 offset0:101 offset1:156
	v_pack_b32_f16 v88, v88, v84
	v_pack_b32_f16 v84, v85, v219
	v_lshrrev_b32_e32 v86, 16, v70
	v_lshrrev_b32_e32 v90, 16, v224
	v_pack_b32_f16 v217, v220, v217
	v_lshrrev_b32_e32 v219, 16, v89
	ds_store_2addr_b32 v71, v84, v69 offset0:43 offset1:113
	ds_load_2addr_b32 v[84:85], v87 offset0:98 offset1:153
	v_mul_f16_e64 v218, v86, v90
	ds_store_2addr_b32 v73, v217, v80 offset0:174 offset1:244
	s_wait_loadcnt 0x5
	v_lshrrev_b32_e32 v80, 16, v226
	v_mul_f16_e32 v69, v70, v90
	v_lshrrev_b32_e32 v220, 16, v223
	s_wait_dscnt 0x4
	v_lshrrev_b32_e32 v90, 16, v78
	v_fma_f16 v70, v70, v224, -v218
	v_mul_f16_e64 v217, v78, v80
	s_wait_loadcnt 0x4
	v_lshrrev_b32_e32 v218, 16, v227
	v_fmac_f16_e64 v69, v86, v224
	v_mul_f16_e32 v80, v90, v80
	s_wait_dscnt 0x3
	v_lshrrev_b32_e32 v86, 16, v82
	v_fmac_f16_e64 v217, v90, v226
	v_mul_f16_e64 v90, v82, v218
	v_pack_b32_f16 v69, v70, v69
	v_fma_f16 v70, v78, v226, -v80
	v_mul_f16_e64 v78, v86, v218
	v_mul_f16_e64 v80, v219, v220
	v_fmac_f16_e64 v90, v86, v227
	ds_store_2addr_b32 v71, v69, v88 offset0:168 offset1:238
	s_wait_loadcnt 0x3
	v_lshrrev_b32_e32 v69, 16, v228
	s_wait_dscnt 0x2
	v_lshrrev_b32_e32 v86, 16, v84
	v_fma_f16 v78, v82, v227, -v78
	v_fma_f16 v80, v89, v223, -v80
	v_mul_f16_e64 v82, v89, v220
	v_mul_f16_e32 v88, v84, v69
	v_mul_f16_e32 v69, v86, v69
	v_lshrrev_b32_e32 v89, 16, v76
	v_lshrrev_b32_e32 v218, 16, v221
	v_pack_b32_f16 v78, v78, v90
	v_fmac_f16_e64 v88, v86, v228
	v_fma_f16 v69, v84, v228, -v69
	v_lshrrev_b32_e32 v86, 16, v79
	v_mul_f16_e64 v84, v89, v218
	s_wait_loadcnt 0x0
	v_lshrrev_b32_e32 v90, 16, v231
	v_pack_b32_f16 v70, v70, v217
	v_mul_f16_e64 v217, v76, v218
	v_pack_b32_f16 v69, v69, v88
	v_fma_f16 v76, v76, v221, -v84
	v_mul_f16_e32 v84, v86, v90
	v_lshrrev_b32_e32 v88, 16, v83
	v_fmac_f16_e64 v217, v89, v221
	v_lshrrev_b32_e32 v89, 16, v230
	v_fmac_f16_e64 v82, v219, v223
	v_lshrrev_b32_e32 v218, 16, v85
	v_lshrrev_b32_e32 v219, 16, v229
	v_fma_f16 v84, v79, v231, -v84
	v_mul_f16_e32 v79, v79, v90
	v_mul_f16_e32 v90, v88, v89
	v_mul_f16_e32 v89, v83, v89
	v_mul_f16_e64 v220, v218, v219
	v_mul_f16_e64 v219, v85, v219
	v_fmac_f16_e64 v79, v86, v231
	v_fma_f16 v83, v83, v230, -v90
	v_fmac_f16_e64 v89, v88, v230
	v_fma_f16 v85, v85, v229, -v220
	v_fmac_f16_e64 v219, v218, v229
	v_pack_b32_f16 v75, v75, v232
	v_pack_b32_f16 v80, v80, v82
	;; [unrolled: 1-line block ×6, first 2 shown]
	ds_store_2addr_b32 v77, v80, v75 offset0:37 offset1:107
	ds_store_2addr_b32 v77, v76, v70 offset0:162 offset1:232
	;; [unrolled: 1-line block ×4, first 2 shown]
	ds_store_b32 v91, v83 offset:5220
	s_and_saveexec_b32 s2, vcc_lo
	s_cbranch_execz .LBB0_9
; %bb.8:
	s_wait_alu 0xfffe
	v_add_co_u32 v69, s0, s0, v91
	s_wait_alu 0xf1ff
	v_add_co_ci_u32_e64 v70, null, s1, 0, s0
	s_clause 0xa
	global_load_b32 v75, v[69:70], off offset:440
	global_load_b32 v76, v[69:70], off offset:940
	;; [unrolled: 1-line block ×11, first 2 shown]
	ds_load_2addr_b32 v[69:70], v91 offset0:110 offset1:235
	s_wait_dscnt 0x0
	v_lshrrev_b32_e32 v78, 16, v69
	v_lshrrev_b32_e32 v82, 16, v70
	s_wait_loadcnt 0xa
	v_lshrrev_b32_e32 v79, 16, v75
	s_wait_loadcnt 0x9
	;; [unrolled: 2-line block ×3, first 2 shown]
	v_lshrrev_b32_e32 v221, 16, v85
	v_mul_f16_e64 v219, v78, v79
	v_mul_f16_e32 v79, v69, v79
	v_mul_f16_e64 v220, v82, v83
	v_mul_f16_e32 v83, v70, v83
	s_wait_loadcnt 0x5
	v_lshrrev_b32_e32 v222, 16, v86
	v_fma_f16 v69, v69, v75, -v219
	v_fmac_f16_e32 v79, v78, v75
	v_fma_f16 v70, v70, v76, -v220
	v_fmac_f16_e32 v83, v82, v76
	v_lshrrev_b32_e32 v219, 16, v80
	v_lshrrev_b32_e32 v220, 16, v84
	v_pack_b32_f16 v69, v69, v79
	s_wait_loadcnt 0x4
	v_lshrrev_b32_e32 v223, 16, v88
	v_pack_b32_f16 v70, v70, v83
	s_wait_loadcnt 0x3
	v_lshrrev_b32_e32 v224, 16, v89
	s_wait_loadcnt 0x2
	v_lshrrev_b32_e32 v226, 16, v90
	;; [unrolled: 2-line block ×4, first 2 shown]
	ds_store_2addr_b32 v91, v69, v70 offset0:110 offset1:235
	ds_load_2addr_b32 v[69:70], v73 offset0:104 offset1:229
	ds_load_2addr_b32 v[75:76], v71 offset0:98 offset1:223
	;; [unrolled: 1-line block ×4, first 2 shown]
	ds_load_b32 v225, v91 offset:5440
	s_wait_dscnt 0x4
	v_lshrrev_b32_e32 v229, 16, v69
	v_lshrrev_b32_e32 v231, 16, v70
	s_wait_dscnt 0x3
	v_lshrrev_b32_e32 v233, 16, v75
	v_lshrrev_b32_e32 v235, 16, v76
	s_wait_dscnt 0x2
	v_lshrrev_b32_e32 v237, 16, v78
	v_lshrrev_b32_e32 v239, 16, v79
	s_wait_dscnt 0x1
	v_lshrrev_b32_e32 v241, 16, v82
	v_lshrrev_b32_e32 v243, 16, v83
	s_wait_dscnt 0x0
	v_lshrrev_b32_e32 v245, 16, v225
	v_mul_f16_e64 v230, v69, v219
	v_mul_f16_e64 v232, v70, v220
	;; [unrolled: 1-line block ×18, first 2 shown]
	v_fmac_f16_e64 v230, v229, v80
	v_fmac_f16_e64 v232, v231, v84
	v_fma_f16 v69, v69, v80, -v219
	v_fma_f16 v70, v70, v84, -v220
	v_fmac_f16_e64 v234, v233, v85
	v_fmac_f16_e64 v236, v235, v86
	v_fma_f16 v75, v75, v85, -v221
	v_fma_f16 v76, v76, v86, -v222
	;; [unrolled: 4-line block ×4, first 2 shown]
	v_fmac_f16_e64 v246, v245, v218
	v_fma_f16 v83, v225, v218, -v228
	v_pack_b32_f16 v69, v69, v230
	v_pack_b32_f16 v70, v70, v232
	;; [unrolled: 1-line block ×9, first 2 shown]
	ds_store_2addr_b32 v73, v69, v70 offset0:104 offset1:229
	ds_store_2addr_b32 v71, v75, v76 offset0:98 offset1:223
	;; [unrolled: 1-line block ×4, first 2 shown]
	ds_store_b32 v91, v83 offset:5440
.LBB0_9:
	s_wait_alu 0xfffe
	s_or_b32 exec_lo, exec_lo, s2
	global_wb scope:SCOPE_SE
	s_wait_dscnt 0x0
	s_barrier_signal -1
	s_barrier_wait -1
	global_inv scope:SCOPE_SE
	ds_load_2addr_b32 v[69:70], v91 offset1:55
	ds_load_2addr_b32 v[89:90], v91 offset0:125 offset1:180
	ds_load_2addr_b32 v[83:84], v72 offset0:122 offset1:177
	;; [unrolled: 1-line block ×10, first 2 shown]
	v_lshrrev_b32_e32 v61, 16, v145
	s_and_saveexec_b32 s0, vcc_lo
	s_cbranch_execz .LBB0_11
; %bb.10:
	ds_load_2addr_b32 v[67:68], v91 offset0:110 offset1:235
	v_add_nc_u32_e32 v59, 0x400, v91
	v_add_nc_u32_e32 v60, 0x800, v91
	;; [unrolled: 1-line block ×3, first 2 shown]
	ds_load_2addr_b32 v[63:64], v59 offset0:104 offset1:229
	v_add_nc_u32_e32 v59, 0x1000, v91
	ds_load_2addr_b32 v[65:66], v60 offset0:98 offset1:223
	ds_load_2addr_b32 v[61:62], v61 offset0:92 offset1:217
	;; [unrolled: 1-line block ×3, first 2 shown]
	ds_load_b32 v138, v91 offset:5440
	s_wait_dscnt 0x5
	v_lshrrev_b32_e32 v214, 16, v67
	v_lshrrev_b32_e32 v215, 16, v68
	s_wait_dscnt 0x4
	v_lshrrev_b32_e32 v216, 16, v63
	v_lshrrev_b32_e32 v141, 16, v64
	s_wait_dscnt 0x3
	v_lshrrev_b32_e32 v142, 16, v65
	v_lshrrev_b32_e32 v145, 16, v66
	s_wait_dscnt 0x2
	v_lshrrev_b32_e32 v144, 16, v61
	v_lshrrev_b32_e32 v143, 16, v62
	s_wait_dscnt 0x1
	v_lshrrev_b32_e32 v140, 16, v59
	v_lshrrev_b32_e32 v139, 16, v60
	s_wait_dscnt 0x0
	v_bfi_b32 v146, 0xffff, v66, v138
	v_mov_b32_e32 v66, v68
.LBB0_11:
	s_wait_alu 0xfffe
	s_or_b32 exec_lo, exec_lo, s0
	s_wait_dscnt 0x9
	v_pk_add_f16 v68, v69, v89
	s_wait_dscnt 0x0
	v_pk_add_f16 v218, v89, v87 neg_lo:[0,1] neg_hi:[0,1]
	v_pk_add_f16 v89, v87, v89
	v_pk_add_f16 v221, v83, v85 neg_lo:[0,1] neg_hi:[0,1]
	v_lshrrev_b32_e32 v219, 16, v69
	v_pk_add_f16 v68, v68, v83
	v_pk_mul_f16 v220, 0xb853, v218 op_sel_hi:[0,1]
	v_lshrrev_b32_e32 v222, 16, v218
	v_lshrrev_b32_e32 v223, 16, v89
	v_pk_add_f16 v83, v85, v83
	v_pk_add_f16 v68, v68, v79
	v_pk_fma_f16 v224, 0x3abb, v89, v220 op_sel:[0,0,1] op_sel_hi:[0,1,0]
	v_pk_fma_f16 v220, 0x3abb, v89, v220 op_sel:[0,0,1] op_sel_hi:[0,1,0] neg_lo:[0,0,1] neg_hi:[0,0,1]
	v_mul_f16_e64 v225, 0xbb47, v222
	v_lshrrev_b32_e32 v235, 16, v221
	v_pk_add_f16 v68, v68, v75
	v_mul_f16_e64 v226, 0x36a6, v223
	v_mul_f16_e64 v228, 0xb08e, v223
	;; [unrolled: 1-line block ×3, first 2 shown]
	v_bfi_b32 v229, 0xffff, v224, v220
	v_pk_add_f16 v68, v68, v71
	v_fma_f16 v230, 0x36a6, v89, v225
	v_mul_f16_e64 v237, 0xba0c, v235
	v_lshrrev_b32_e32 v238, 16, v83
	v_mul_f16_e64 v227, 0xbbeb, v222
	v_pk_add_f16 v68, v68, v73
	v_fma_f16 v231, 0x3b47, v218, v226
	v_fma_f16 v225, v89, 0x36a6, -v225
	v_fmac_f16_e64 v226, 0xbb47, v218
	v_fma_f16 v233, 0x3beb, v218, v228
	v_pk_add_f16 v68, v68, v77
	v_pk_add_f16 v229, v69, v229
	v_add_f16_e64 v230, v69, v230
	v_fmac_f16_e64 v228, 0xbbeb, v218
	v_fma_f16 v234, 0x3a0c, v218, v223
	v_pk_add_f16 v68, v68, v81
	v_fmac_f16_e64 v223, 0xba0c, v218
	v_fma_f16 v240, 0xb93d, v83, v237
	v_mul_f16_e64 v241, 0xb93d, v238
	v_fma_f16 v232, 0xb08e, v89, v227
	v_pk_add_f16 v68, v68, v85
	v_pk_mul_f16 v85, 0xbb47, v221 op_sel_hi:[0,1]
	v_fma_f16 v227, v89, 0xb08e, -v227
	v_add_f16_e64 v231, v219, v231
	v_add_f16_e64 v225, v69, v225
	;; [unrolled: 1-line block ×3, first 2 shown]
	v_pk_fma_f16 v236, 0x36a6, v83, v85 op_sel:[0,0,1] op_sel_hi:[0,1,0]
	v_pk_fma_f16 v85, 0x36a6, v83, v85 op_sel:[0,0,1] op_sel_hi:[0,1,0] neg_lo:[0,0,1] neg_hi:[0,0,1]
	v_add_f16_e64 v233, v219, v233
	v_add_f16_e64 v228, v219, v228
	;; [unrolled: 1-line block ×4, first 2 shown]
	v_bfi_b32 v239, 0xffff, v236, v85
	v_fma_f16 v237, v83, 0xb93d, -v237
	v_mul_f16_e64 v222, 0xba0c, v222
	v_add_f16_e64 v232, v69, v232
	v_add_f16_e64 v227, v69, v227
	v_pk_add_f16 v223, v239, v229
	v_add_f16_e64 v229, v240, v230
	v_fma_f16 v230, 0x3a0c, v221, v241
	v_mul_f16_e64 v239, 0x3482, v235
	v_mul_f16_e64 v240, 0xbbad, v238
	v_add_f16_e64 v225, v237, v225
	v_pk_add_f16 v68, v68, v87
	v_add_f16_e64 v230, v230, v231
	v_fma_f16 v231, 0xbbad, v83, v239
	v_fma_f16 v242, 0xb482, v221, v240
	v_fma_f16 v237, v83, 0xbbad, -v239
	v_fma_f16 v87, 0xb93d, v89, v222
	v_fmac_f16_e64 v241, 0xba0c, v221
	v_add_f16_e64 v231, v231, v232
	v_add_f16_e64 v232, v242, v233
	v_mul_f16_e64 v233, 0x3beb, v235
	v_add_f16_e64 v227, v237, v227
	v_pk_add_f16 v237, v79, v81 neg_lo:[0,1] neg_hi:[0,1]
	v_pk_add_f16 v79, v81, v79
	v_add_f16_e32 v87, v69, v87
	v_fma_f16 v222, v89, 0xb93d, -v222
	v_add_f16_e64 v226, v241, v226
	v_mul_f16_e64 v235, 0xb08e, v238
	v_fmac_f16_e64 v240, 0x3482, v221
	v_fma_f16 v238, 0xb08e, v83, v233
	v_pk_mul_f16 v81, 0xbbeb, v237 op_sel_hi:[0,1]
	v_lshrrev_b32_e32 v241, 16, v79
	v_add_f16_e64 v222, v69, v222
	v_fma_f16 v239, 0xbbeb, v221, v235
	v_add_f16_e64 v228, v240, v228
	v_lshrrev_b32_e32 v240, 16, v237
	v_add_f16_e64 v87, v238, v87
	v_pk_fma_f16 v238, 0xb08e, v79, v81 op_sel:[0,0,1] op_sel_hi:[0,1,0]
	v_pk_fma_f16 v81, 0xb08e, v79, v81 op_sel:[0,0,1] op_sel_hi:[0,1,0] neg_lo:[0,0,1] neg_hi:[0,0,1]
	v_fma_f16 v233, v83, 0xb08e, -v233
	v_fmac_f16_e64 v235, 0x3beb, v221
	v_mul_f16_e64 v244, 0xbbad, v241
	v_add_f16_e64 v234, v239, v234
	v_mul_f16_e64 v239, 0x3482, v240
	v_bfi_b32 v242, 0xffff, v238, v81
	v_add_f16_e64 v222, v233, v222
	v_add_f16_e64 v219, v235, v219
	v_fma_f16 v233, 0xb482, v237, v244
	v_mul_f16_e64 v235, 0x3b47, v240
	v_fma_f16 v243, 0xbbad, v79, v239
	v_pk_add_f16 v223, v242, v223
	v_mul_f16_e64 v242, 0x36a6, v241
	v_add_f16_e64 v230, v233, v230
	v_fma_f16 v233, 0x36a6, v79, v235
	v_fma_f16 v235, v79, 0x36a6, -v235
	v_add_f16_e64 v229, v243, v229
	v_fma_f16 v239, v79, 0xbbad, -v239
	v_fma_f16 v243, 0xbb47, v237, v242
	v_add_f16_e64 v231, v233, v231
	v_mul_f16_e64 v233, 0xb853, v240
	v_add_f16_e64 v227, v235, v227
	v_pk_add_f16 v235, v75, v77 neg_lo:[0,1] neg_hi:[0,1]
	v_pk_add_f16 v75, v77, v75
	v_add_f16_e64 v225, v239, v225
	v_add_f16_e64 v232, v243, v232
	v_mul_f16_e64 v239, 0x3abb, v241
	v_fmac_f16_e64 v242, 0x3b47, v237
	v_fma_f16 v240, 0x3abb, v79, v233
	v_pk_mul_f16 v77, 0xba0c, v235 op_sel_hi:[0,1]
	v_lshrrev_b32_e32 v243, 16, v75
	v_fmac_f16_e64 v244, 0x3482, v237
	v_fma_f16 v241, 0x3853, v237, v239
	v_add_f16_e64 v228, v242, v228
	v_lshrrev_b32_e32 v242, 16, v235
	v_add_f16_e64 v87, v240, v87
	v_pk_fma_f16 v240, 0xb93d, v75, v77 op_sel:[0,0,1] op_sel_hi:[0,1,0]
	v_pk_fma_f16 v77, 0xb93d, v75, v77 op_sel:[0,0,1] op_sel_hi:[0,1,0] neg_lo:[0,0,1] neg_hi:[0,0,1]
	v_fma_f16 v233, v79, 0x3abb, -v233
	v_fmac_f16_e64 v239, 0xb853, v237
	v_mul_f16_e64 v246, 0xb08e, v243
	v_add_f16_e64 v226, v244, v226
	v_add_f16_e64 v234, v241, v234
	v_mul_f16_e64 v241, 0x3beb, v242
	v_bfi_b32 v244, 0xffff, v240, v77
	v_add_f16_e64 v222, v233, v222
	v_add_f16_e64 v219, v239, v219
	v_fma_f16 v233, 0xbbeb, v235, v246
	v_mul_f16_e64 v239, 0xb853, v242
	v_fma_f16 v245, 0xb08e, v75, v241
	v_pk_add_f16 v223, v244, v223
	v_mul_f16_e64 v244, 0x3abb, v243
	v_fma_f16 v241, v75, 0xb08e, -v241
	v_add_f16_e64 v230, v233, v230
	v_fma_f16 v233, 0x3abb, v75, v239
	v_fma_f16 v239, v75, 0x3abb, -v239
	v_add_f16_e64 v229, v245, v229
	v_fma_f16 v245, 0x3853, v235, v244
	v_add_f16_e64 v225, v241, v225
	v_mul_f16_e64 v241, 0xbbad, v243
	v_add_f16_e64 v227, v239, v227
	v_pk_add_f16 v239, v71, v73 neg_lo:[0,1] neg_hi:[0,1]
	v_fmac_f16_e64 v244, 0xb853, v235
	v_pk_add_f16 v71, v73, v71
	v_add_f16_e64 v231, v233, v231
	v_add_f16_e64 v232, v245, v232
	v_mul_f16_e64 v233, 0xb482, v242
	v_fma_f16 v243, 0x3482, v235, v241
	v_add_f16_e64 v228, v244, v228
	v_lshrrev_b32_e32 v244, 16, v239
	v_lshrrev_b32_e32 v245, 16, v71
	v_fma_f16 v242, 0xbbad, v75, v233
	v_add_f16_e64 v234, v243, v234
	v_fma_f16 v233, v75, 0xbbad, -v233
	v_mul_f16_e64 v243, 0x3853, v244
	v_fmac_f16_e64 v241, 0xb482, v235
	v_mul_f16_e64 v248, 0x3abb, v245
	v_pk_mul_f16 v73, 0xb482, v239 op_sel_hi:[0,1]
	v_add_f16_e64 v222, v233, v222
	v_fma_f16 v247, 0x3abb, v71, v243
	v_add_f16_e64 v219, v241, v219
	v_fma_f16 v233, 0xb853, v239, v248
	v_mul_f16_e64 v241, 0xba0c, v244
	v_fma_f16 v243, v71, 0x3abb, -v243
	v_fmac_f16_e64 v246, 0x3beb, v235
	v_add_f16_e64 v87, v242, v87
	v_add_f16_e64 v230, v233, v230
	v_fma_f16 v233, 0xb93d, v71, v241
	v_add_f16_e64 v225, v243, v225
	v_mul_f16_e64 v243, 0x3b47, v244
	v_pk_fma_f16 v242, 0xbbad, v71, v73 op_sel:[0,0,1] op_sel_hi:[0,1,0]
	v_pk_fma_f16 v73, 0xbbad, v71, v73 op_sel:[0,0,1] op_sel_hi:[0,1,0] neg_lo:[0,0,1] neg_hi:[0,0,1]
	v_add_f16_e64 v231, v233, v231
	v_fma_f16 v233, v71, 0xb93d, -v241
	v_fma_f16 v241, 0x36a6, v71, v243
	v_mul_f16_e64 v244, 0x36a6, v245
	v_pk_mul_f16 v89, 0xbbad, v89 op_sel_hi:[0,1]
	v_add_f16_e64 v226, v246, v226
	v_bfi_b32 v246, 0xffff, v242, v73
	v_add_f16_e64 v227, v233, v227
	v_add_f16_e64 v87, v241, v87
	v_fma_f16 v233, 0xbb47, v239, v244
	v_pk_fma_f16 v241, 0xb482, v218, v89 op_sel:[0,0,1] op_sel_hi:[0,1,0]
	v_pk_add_f16 v223, v246, v223
	v_mul_f16_e64 v246, 0xb93d, v245
	v_fma_f16 v243, v71, 0x36a6, -v243
	v_pk_mul_f16 v83, 0x3abb, v83 op_sel_hi:[0,1]
	v_pk_fma_f16 v89, 0xb482, v218, v89 op_sel:[0,0,1] op_sel_hi:[0,1,0] neg_lo:[0,1,0] neg_hi:[0,1,0]
	v_add_f16_e64 v233, v233, v234
	v_alignbit_b32 v234, s0, v241, 16
	v_add_f16_e64 v229, v247, v229
	v_fma_f16 v247, 0x3a0c, v239, v246
	v_fmac_f16_e64 v244, 0x3b47, v239
	v_add_f16_e64 v222, v243, v222
	v_pk_fma_f16 v243, 0x3853, v221, v83 op_sel:[0,0,1] op_sel_hi:[0,1,0]
	v_pk_mul_f16 v79, 0xb93d, v79 op_sel_hi:[0,1]
	v_pk_add_f16 v89, v69, v89 op_sel:[1,0] op_sel_hi:[0,1]
	v_pk_fma_f16 v83, 0x3853, v221, v83 op_sel:[0,0,1] op_sel_hi:[0,1,0] neg_lo:[0,1,0] neg_hi:[0,1,0]
	v_pk_add_f16 v218, v69, v234
	v_alignbit_b32 v234, s0, v69, 16
	v_add_f16_e64 v232, v247, v232
	v_add_f16_e64 v219, v244, v219
	v_alignbit_b32 v244, s0, v243, 16
	v_pk_fma_f16 v221, 0xba0c, v237, v79 op_sel:[0,0,1] op_sel_hi:[0,1,0]
	v_pk_mul_f16 v75, 0x36a6, v75 op_sel_hi:[0,1]
	v_pk_add_f16 v83, v83, v89
	v_pk_fma_f16 v79, 0xba0c, v237, v79 op_sel:[0,0,1] op_sel_hi:[0,1,0] neg_lo:[0,1,0] neg_hi:[0,1,0]
	v_pk_add_f16 v234, v234, v241
	v_pk_add_f16 v217, v70, v90
	v_pk_add_f16 v218, v244, v218
	v_alignbit_b32 v89, s0, v221, 16
	v_pack_b32_f16 v231, v231, v232
	v_pk_fma_f16 v232, 0x3b47, v235, v75 op_sel:[0,0,1] op_sel_hi:[0,1,0]
	v_pk_add_f16 v79, v79, v83
	v_pk_mul_f16 v71, 0xb08e, v71 op_sel_hi:[0,1]
	v_pk_fma_f16 v75, 0x3b47, v235, v75 op_sel:[0,0,1] op_sel_hi:[0,1,0] neg_lo:[0,1,0] neg_hi:[0,1,0]
	v_pk_add_f16 v234, v243, v234
	v_pk_add_f16 v89, v89, v218
	v_pack_b32_f16 v218, v229, v230
	v_pk_fma_f16 v229, 0xbbeb, v239, v71 op_sel:[0,0,1] op_sel_hi:[0,1,0]
	v_pk_add_f16 v75, v75, v79
	v_pk_fma_f16 v71, 0xbbeb, v239, v71 op_sel:[0,0,1] op_sel_hi:[0,1,0] neg_lo:[0,1,0] neg_hi:[0,1,0]
	v_pk_add_f16 v217, v217, v84
	v_alignbit_b32 v83, s0, v232, 16
	v_pk_add_f16 v221, v221, v234
	v_bfi_b32 v79, 0xffff, v220, v224
	v_pk_add_f16 v71, v71, v75
	v_pk_add_f16 v75, v217, v80
	;; [unrolled: 1-line block ×4, first 2 shown]
	v_alignbit_b32 v220, s0, v229, 16
	v_pk_add_f16 v69, v69, v79
	v_bfi_b32 v79, 0xffff, v85, v236
	v_pk_add_f16 v75, v75, v76
	v_pk_add_f16 v85, v229, v89
	;; [unrolled: 1-line block ×3, first 2 shown]
	global_wb scope:SCOPE_SE
	v_pk_add_f16 v69, v79, v69
	v_bfi_b32 v79, 0xffff, v81, v238
	v_pk_add_f16 v75, v75, v72
	v_pack_b32_f16 v81, v87, v233
	v_alignbit_b32 v85, v85, v71, 16
	v_pack_b32_f16 v71, v83, v71
	s_barrier_signal -1
	s_barrier_wait -1
	global_inv scope:SCOPE_SE
	v_pk_add_f16 v69, v79, v69
	v_bfi_b32 v77, 0xffff, v77, v240
	ds_store_2addr_b32 v193, v68, v223 offset1:1
	ds_store_2addr_b32 v193, v218, v231 offset0:2 offset1:3
	ds_store_b32 v193, v81 offset:16
	ds_store_2addr_b32 v193, v71, v85 offset0:5 offset1:6
	v_pk_add_f16 v68, v75, v74
	v_pk_add_f16 v75, v90, v88 neg_lo:[0,1] neg_hi:[0,1]
	v_fmac_f16_e64 v246, 0xba0c, v239
	v_pk_add_f16 v69, v77, v69
	v_bfi_b32 v73, 0xffff, v73, v242
	v_pk_add_f16 v68, v68, v78
	v_pk_add_f16 v77, v88, v90
	v_pk_mul_f16 v79, 0xb853, v75 op_sel_hi:[0,1]
	v_fmac_f16_e64 v248, 0x3853, v239
	v_add_f16_e64 v228, v246, v228
	v_pack_b32_f16 v81, v222, v219
	v_lshrrev_b32_e32 v83, 16, v75
	v_pk_add_f16 v69, v73, v69
	v_pk_add_f16 v68, v68, v82
	v_pk_fma_f16 v73, 0x3abb, v77, v79 op_sel:[0,0,1] op_sel_hi:[0,1,0]
	v_pk_fma_f16 v79, 0x3abb, v77, v79 op_sel:[0,0,1] op_sel_hi:[0,1,0] neg_lo:[0,0,1] neg_hi:[0,0,1]
	v_pk_add_f16 v219, v84, v86 neg_lo:[0,1] neg_hi:[0,1]
	v_add_f16_e64 v226, v248, v226
	v_pack_b32_f16 v71, v227, v228
	v_mul_f16_e32 v85, 0xbb47, v83
	v_lshrrev_b32_e32 v87, 16, v77
	v_pk_add_f16 v68, v68, v86
	v_bfi_b32 v90, 0xffff, v73, v79
	v_pk_add_f16 v84, v86, v84
	v_pk_mul_f16 v86, 0xbb47, v219 op_sel_hi:[0,1]
	v_lshrrev_b32_e32 v222, 16, v219
	v_pack_b32_f16 v89, v225, v226
	v_fma_f16 v217, 0x36a6, v77, v85
	v_mul_f16_e64 v218, 0x36a6, v87
	ds_store_2addr_b32 v193, v81, v71 offset0:7 offset1:8
	ds_store_2addr_b32 v193, v89, v69 offset0:9 offset1:10
	v_pk_add_f16 v69, v70, v90
	v_mul_f16_e32 v90, 0xb08e, v87
	v_mul_f16_e32 v87, 0xb93d, v87
	v_pk_fma_f16 v223, 0x36a6, v84, v86 op_sel:[0,0,1] op_sel_hi:[0,1,0]
	v_pk_fma_f16 v86, 0x36a6, v84, v86 op_sel:[0,0,1] op_sel_hi:[0,1,0] neg_lo:[0,0,1] neg_hi:[0,0,1]
	v_mul_f16_e64 v224, 0xba0c, v222
	v_lshrrev_b32_e32 v225, 16, v84
	v_pk_add_f16 v68, v68, v88
	v_add_f16_e64 v71, v70, v217
	v_fma_f16 v81, 0x3b47, v75, v218
	v_lshrrev_b32_e32 v88, 16, v70
	v_mul_f16_e32 v89, 0xbbeb, v83
	v_fma_f16 v85, v77, 0x36a6, -v85
	v_fmac_f16_e64 v218, 0xbb47, v75
	v_fma_f16 v217, 0x3beb, v75, v90
	v_fmac_f16_e32 v90, 0xbbeb, v75
	v_fma_f16 v221, 0x3a0c, v75, v87
	v_fmac_f16_e32 v87, 0xba0c, v75
	v_bfi_b32 v226, 0xffff, v223, v86
	v_fma_f16 v227, 0xb93d, v84, v224
	v_mul_f16_e64 v228, 0xb93d, v225
	v_add_f16_e32 v81, v88, v81
	v_fma_f16 v193, 0xb08e, v77, v89
	v_add_f16_e32 v85, v70, v85
	v_add_f16_e64 v218, v88, v218
	v_fma_f16 v89, v77, 0xb08e, -v89
	v_add_f16_e64 v217, v88, v217
	v_add_f16_e32 v90, v88, v90
	v_add_f16_e64 v221, v88, v221
	v_add_f16_e32 v87, v88, v87
	v_pk_add_f16 v69, v226, v69
	v_add_f16_e64 v71, v227, v71
	v_fma_f16 v88, 0x3a0c, v219, v228
	v_mul_f16_e64 v226, 0x3482, v222
	v_mul_f16_e64 v227, 0xbbad, v225
	v_fma_f16 v224, v84, 0xb93d, -v224
	v_add_f16_e64 v193, v70, v193
	v_mul_f16_e32 v83, 0xba0c, v83
	v_add_f16_e32 v89, v70, v89
	v_add_f16_e32 v81, v88, v81
	v_fma_f16 v88, 0xbbad, v84, v226
	v_fma_f16 v229, 0xb482, v219, v227
	v_add_f16_e64 v85, v224, v85
	v_fma_f16 v224, v84, 0xbbad, -v226
	v_fma_f16 v220, 0xb93d, v77, v83
	v_fmac_f16_e64 v228, 0xba0c, v219
	v_add_f16_e64 v88, v88, v193
	v_add_f16_e64 v193, v229, v217
	v_mul_f16_e64 v217, 0x3beb, v222
	v_add_f16_e64 v89, v224, v89
	v_pk_add_f16 v224, v80, v82 neg_lo:[0,1] neg_hi:[0,1]
	v_pk_add_f16 v80, v82, v80
	v_add_f16_e64 v220, v70, v220
	v_fma_f16 v83, v77, 0xb93d, -v83
	v_add_f16_e64 v218, v228, v218
	v_mul_f16_e64 v222, 0xb08e, v225
	v_fmac_f16_e64 v227, 0x3482, v219
	v_fma_f16 v225, 0xb08e, v84, v217
	v_pk_mul_f16 v82, 0xbbeb, v224 op_sel_hi:[0,1]
	v_lshrrev_b32_e32 v228, 16, v80
	v_add_f16_e32 v83, v70, v83
	v_fma_f16 v226, 0xbbeb, v219, v222
	v_add_f16_e64 v90, v227, v90
	v_lshrrev_b32_e32 v227, 16, v224
	v_add_f16_e64 v220, v225, v220
	v_pk_fma_f16 v225, 0xb08e, v80, v82 op_sel:[0,0,1] op_sel_hi:[0,1,0]
	v_pk_fma_f16 v82, 0xb08e, v80, v82 op_sel:[0,0,1] op_sel_hi:[0,1,0] neg_lo:[0,0,1] neg_hi:[0,0,1]
	v_fma_f16 v217, v84, 0xb08e, -v217
	v_fmac_f16_e64 v222, 0x3beb, v219
	v_mul_f16_e64 v231, 0xbbad, v228
	v_add_f16_e64 v221, v226, v221
	v_mul_f16_e64 v226, 0x3482, v227
	v_bfi_b32 v229, 0xffff, v225, v82
	v_add_f16_e64 v83, v217, v83
	v_add_f16_e64 v87, v222, v87
	v_fma_f16 v217, 0xb482, v224, v231
	v_mul_f16_e64 v222, 0x3b47, v227
	v_fma_f16 v230, 0xbbad, v80, v226
	v_pk_add_f16 v69, v229, v69
	v_mul_f16_e64 v229, 0x36a6, v228
	v_add_f16_e64 v81, v217, v81
	v_fma_f16 v217, 0x36a6, v80, v222
	v_fma_f16 v222, v80, 0x36a6, -v222
	v_add_f16_e64 v71, v230, v71
	v_fma_f16 v226, v80, 0xbbad, -v226
	v_fma_f16 v230, 0xbb47, v224, v229
	v_add_f16_e64 v88, v217, v88
	v_mul_f16_e64 v217, 0xb853, v227
	v_add_f16_e64 v89, v222, v89
	v_pk_add_f16 v222, v76, v78 neg_lo:[0,1] neg_hi:[0,1]
	v_pk_add_f16 v76, v78, v76
	v_add_f16_e64 v85, v226, v85
	v_add_f16_e64 v193, v230, v193
	v_mul_f16_e64 v226, 0x3abb, v228
	v_fmac_f16_e64 v229, 0x3b47, v224
	v_fma_f16 v227, 0x3abb, v80, v217
	v_pk_mul_f16 v78, 0xba0c, v222 op_sel_hi:[0,1]
	v_lshrrev_b32_e32 v230, 16, v76
	v_fmac_f16_e64 v231, 0x3482, v224
	v_fma_f16 v228, 0x3853, v224, v226
	v_add_f16_e64 v90, v229, v90
	v_lshrrev_b32_e32 v229, 16, v222
	v_add_f16_e64 v220, v227, v220
	v_pk_fma_f16 v227, 0xb93d, v76, v78 op_sel:[0,0,1] op_sel_hi:[0,1,0]
	v_pk_fma_f16 v78, 0xb93d, v76, v78 op_sel:[0,0,1] op_sel_hi:[0,1,0] neg_lo:[0,0,1] neg_hi:[0,0,1]
	v_fma_f16 v217, v80, 0x3abb, -v217
	v_fmac_f16_e64 v226, 0xb853, v224
	v_mul_f16_e64 v233, 0xb08e, v230
	v_add_f16_e64 v218, v231, v218
	v_add_f16_e64 v221, v228, v221
	v_mul_f16_e64 v228, 0x3beb, v229
	v_bfi_b32 v231, 0xffff, v227, v78
	v_add_f16_e64 v83, v217, v83
	v_add_f16_e64 v87, v226, v87
	v_fma_f16 v217, 0xbbeb, v222, v233
	v_mul_f16_e64 v226, 0xb853, v229
	v_fma_f16 v232, 0xb08e, v76, v228
	v_pk_add_f16 v69, v231, v69
	v_mul_f16_e64 v231, 0x3abb, v230
	v_fma_f16 v228, v76, 0xb08e, -v228
	v_add_f16_e64 v81, v217, v81
	v_fma_f16 v217, 0x3abb, v76, v226
	v_fma_f16 v226, v76, 0x3abb, -v226
	v_add_f16_e64 v71, v232, v71
	v_fma_f16 v232, 0x3853, v222, v231
	v_add_f16_e64 v85, v228, v85
	v_add_f16_e64 v88, v217, v88
	v_mul_f16_e64 v217, 0xb482, v229
	v_mul_f16_e64 v228, 0xbbad, v230
	v_add_f16_e64 v89, v226, v89
	v_pk_add_f16 v226, v72, v74 neg_lo:[0,1] neg_hi:[0,1]
	v_fmac_f16_e64 v231, 0xb853, v222
	v_fma_f16 v229, 0xbbad, v76, v217
	v_fma_f16 v230, 0x3482, v222, v228
	v_pk_add_f16 v72, v74, v72
	v_pk_mul_f16 v74, 0xb482, v226 op_sel_hi:[0,1]
	v_add_f16_e64 v90, v231, v90
	v_lshrrev_b32_e32 v231, 16, v226
	v_fmac_f16_e64 v233, 0x3beb, v222
	v_add_f16_e64 v193, v232, v193
	v_add_f16_e64 v220, v229, v220
	;; [unrolled: 1-line block ×3, first 2 shown]
	v_pk_fma_f16 v229, 0xbbad, v72, v74 op_sel:[0,0,1] op_sel_hi:[0,1,0]
	v_pk_fma_f16 v74, 0xbbad, v72, v74 op_sel:[0,0,1] op_sel_hi:[0,1,0] neg_lo:[0,0,1] neg_hi:[0,0,1]
	v_mul_f16_e64 v230, 0x3853, v231
	v_fma_f16 v217, v76, 0xbbad, -v217
	v_lshrrev_b32_e32 v232, 16, v72
	v_add_f16_e64 v218, v233, v218
	v_fmac_f16_e64 v228, 0xb482, v222
	v_bfi_b32 v233, 0xffff, v229, v74
	v_fma_f16 v234, 0x3abb, v72, v230
	v_add_f16_e64 v83, v217, v83
	v_mul_f16_e64 v217, 0x3abb, v232
	v_add_f16_e64 v87, v228, v87
	v_pk_add_f16 v69, v233, v69
	v_add_f16_e64 v71, v234, v71
	v_mul_f16_e64 v228, 0xba0c, v231
	v_fma_f16 v233, 0xb853, v226, v217
	v_fma_f16 v230, v72, 0x3abb, -v230
	v_fmac_f16_e64 v217, 0x3853, v226
	v_mul_f16_e64 v234, 0xb93d, v232
	v_fma_f16 v235, 0xb93d, v72, v228
	v_fma_f16 v228, v72, 0xb93d, -v228
	v_add_f16_e64 v85, v230, v85
	v_add_f16_e64 v217, v217, v218
	v_fma_f16 v218, 0x3a0c, v226, v234
	v_mul_f16_e64 v230, 0x3b47, v231
	v_add_f16_e64 v89, v228, v89
	v_pk_mul_f16 v77, 0xbbad, v77 op_sel_hi:[0,1]
	v_pk_mul_f16 v84, 0x3abb, v84 op_sel_hi:[0,1]
	v_add_f16_e64 v193, v218, v193
	v_mul_f16_e64 v218, 0x36a6, v232
	v_fma_f16 v228, 0x36a6, v72, v230
	v_add_f16_e64 v81, v233, v81
	v_add_f16_e64 v88, v235, v88
	v_pk_mul_f16 v80, 0xb93d, v80 op_sel_hi:[0,1]
	v_fma_f16 v231, 0xbb47, v226, v218
	v_fmac_f16_e64 v218, 0x3b47, v226
	v_add_f16_e64 v220, v228, v220
	v_pk_fma_f16 v228, 0xb482, v75, v77 op_sel:[0,0,1] op_sel_hi:[0,1,0]
	v_pk_fma_f16 v75, 0xb482, v75, v77 op_sel:[0,0,1] op_sel_hi:[0,1,0] neg_lo:[0,1,0] neg_hi:[0,1,0]
	v_pk_fma_f16 v77, 0x3853, v219, v84 op_sel:[0,0,1] op_sel_hi:[0,1,0]
	v_add_f16_e64 v87, v218, v87
	v_pack_b32_f16 v88, v88, v193
	v_alignbit_b32 v218, s0, v228, 16
	v_pack_b32_f16 v71, v71, v81
	v_alignbit_b32 v193, s0, v70, 16
	v_pk_add_f16 v75, v70, v75 op_sel:[1,0] op_sel_hi:[0,1]
	v_pk_fma_f16 v84, 0x3853, v219, v84 op_sel:[0,0,1] op_sel_hi:[0,1,0] neg_lo:[0,1,0] neg_hi:[0,1,0]
	v_pk_add_f16 v81, v70, v218
	v_alignbit_b32 v218, s0, v77, 16
	v_pk_fma_f16 v219, 0xba0c, v224, v80 op_sel:[0,0,1] op_sel_hi:[0,1,0]
	v_pk_mul_f16 v76, 0x36a6, v76 op_sel_hi:[0,1]
	v_pk_add_f16 v193, v193, v228
	v_pk_add_f16 v75, v84, v75
	;; [unrolled: 1-line block ×3, first 2 shown]
	v_alignbit_b32 v84, s0, v219, 16
	v_pk_fma_f16 v80, 0xba0c, v224, v80 op_sel:[0,0,1] op_sel_hi:[0,1,0] neg_lo:[0,1,0] neg_hi:[0,1,0]
	v_pk_fma_f16 v218, 0x3b47, v222, v76 op_sel:[0,0,1] op_sel_hi:[0,1,0]
	v_bfi_b32 v73, 0xffff, v79, v73
	v_fma_f16 v230, v72, 0x36a6, -v230
	v_pk_add_f16 v77, v77, v193
	v_pk_add_f16 v79, v84, v81
	;; [unrolled: 1-line block ×3, first 2 shown]
	v_alignbit_b32 v80, s0, v218, 16
	v_pk_mul_f16 v72, 0xb08e, v72 op_sel_hi:[0,1]
	v_pk_add_f16 v70, v70, v73
	v_bfi_b32 v73, 0xffff, v86, v223
	v_pk_add_f16 v77, v219, v77
	v_pk_fma_f16 v76, 0x3b47, v222, v76 op_sel:[0,0,1] op_sel_hi:[0,1,0] neg_lo:[0,1,0] neg_hi:[0,1,0]
	v_pk_add_f16 v79, v80, v79
	v_pk_fma_f16 v80, 0xbbeb, v226, v72 op_sel:[0,0,1] op_sel_hi:[0,1,0]
	v_pk_add_f16 v70, v73, v70
	v_bfi_b32 v73, 0xffff, v82, v225
	v_pk_add_f16 v75, v76, v75
	v_pk_fma_f16 v72, 0xbbeb, v226, v72 op_sel:[0,0,1] op_sel_hi:[0,1,0] neg_lo:[0,1,0] neg_hi:[0,1,0]
	v_pk_add_f16 v76, v218, v77
	v_alignbit_b32 v77, s0, v80, 16
	v_fmac_f16_e64 v234, 0xba0c, v226
	v_pk_add_f16 v70, v73, v70
	v_bfi_b32 v73, 0xffff, v78, v227
	v_add_f16_e64 v221, v231, v221
	v_pk_add_f16 v72, v72, v75
	v_pk_add_f16 v75, v80, v76
	;; [unrolled: 1-line block ×3, first 2 shown]
	v_add_f16_e64 v90, v234, v90
	v_add_f16_e64 v83, v230, v83
	v_pk_add_f16 v70, v73, v70
	v_bfi_b32 v73, 0xffff, v74, v229
	v_pack_b32_f16 v77, v220, v221
	v_alignbit_b32 v74, v75, v72, 16
	v_pack_b32_f16 v72, v76, v72
	v_pack_b32_f16 v75, v89, v90
	;; [unrolled: 1-line block ×3, first 2 shown]
	v_pk_add_f16 v70, v73, v70
	v_pack_b32_f16 v73, v85, v217
	ds_store_2addr_b32 v169, v68, v69 offset1:1
	ds_store_2addr_b32 v169, v71, v88 offset0:2 offset1:3
	ds_store_b32 v169, v77 offset:16
	ds_store_2addr_b32 v169, v72, v74 offset0:5 offset1:6
	ds_store_2addr_b32 v169, v76, v75 offset0:7 offset1:8
	ds_store_2addr_b32 v169, v73, v70 offset0:9 offset1:10
	s_and_saveexec_b32 s0, vcc_lo
	s_cbranch_execz .LBB0_13
; %bb.12:
	v_add_f16_e32 v68, v66, v67
	v_sub_f16_e32 v73, v65, v62
	v_add_f16_e32 v76, v62, v65
	v_lshrrev_b32_e32 v69, 16, v146
	v_sub_f16_e64 v74, v146, v61
	v_add_f16_e32 v68, v63, v68
	v_add_f16_e64 v77, v61, v146
	v_sub_f16_e64 v70, v66, v138
	v_sub_f16_e64 v75, v215, v69
	v_sub_f16_e32 v72, v64, v59
	v_add_f16_e32 v68, v64, v68
	v_add_f16_e64 v66, v138, v66
	v_add_f16_e32 v64, v59, v64
	v_mul_f16_e32 v78, 0xb482, v75
	v_mul_f16_e32 v79, 0xba0c, v75
	v_add_f16_e32 v65, v65, v68
	v_add_f16_e64 v68, v69, v215
	v_mul_f16_e32 v80, 0xbbeb, v75
	v_mul_f16_e32 v81, 0xbb47, v75
	v_mul_f16_e32 v75, 0xb853, v75
	v_add_f16_e64 v65, v146, v65
	v_sub_f16_e32 v71, v63, v60
	v_add_f16_e32 v63, v60, v63
	v_mul_f16_e32 v82, 0xbbad, v68
	v_fmamk_f16 v83, v66, 0xbbad, v78
	v_add_f16_e32 v61, v61, v65
	v_fmamk_f16 v84, v66, 0xb08e, v80
	v_fmamk_f16 v85, v66, 0x36a6, v81
	;; [unrolled: 1-line block ×4, first 2 shown]
	v_add_f16_e32 v61, v62, v61
	v_fma_f16 v62, v66, 0xbbad, -v78
	v_fma_f16 v78, v66, 0xb93d, -v79
	;; [unrolled: 1-line block ×4, first 2 shown]
	v_add_f16_e32 v59, v59, v61
	v_fma_f16 v61, v66, 0x3abb, -v75
	v_add_f16_e32 v66, v67, v83
	v_add_f16_e32 v75, v67, v84
	;; [unrolled: 1-line block ×4, first 2 shown]
	v_add_f16_e64 v60, v139, v216
	v_add_f16_e32 v83, v67, v86
	v_fmamk_f16 v84, v70, 0x3482, v82
	v_add_f16_e64 v86, v140, v141
	v_add_f16_e64 v89, v143, v142
	v_mul_f16_e32 v85, 0x3abb, v60
	v_add_f16_e32 v65, v67, v65
	v_add_f16_e64 v84, v214, v84
	v_mul_f16_e32 v88, 0xb93d, v86
	v_add_f16_e32 v62, v67, v62
	v_fmamk_f16 v87, v71, 0xb853, v85
	v_add_f16_e32 v78, v67, v78
	v_add_f16_e32 v79, v67, v79
	;; [unrolled: 1-line block ×5, first 2 shown]
	v_fmamk_f16 v84, v72, 0x3a0c, v88
	v_mul_f16_e32 v87, 0x36a6, v89
	v_sub_f16_e64 v90, v216, v139
	v_mul_f16_e64 v220, 0xb08e, v60
	v_mul_f16_e64 v232, 0xbbad, v60
	v_add_f16_e32 v67, v84, v67
	v_fmamk_f16 v84, v73, 0xbb47, v87
	v_mul_f16_e64 v242, 0xb93d, v60
	v_fma_f16 v221, 0xbbeb, v71, v220
	v_fma_f16 v233, 0xb482, v71, v232
	v_add_f16_e64 v215, v215, v214
	v_add_f16_e32 v67, v84, v67
	v_mul_f16_e32 v84, 0x3853, v90
	v_fma_f16 v243, 0x3a0c, v71, v242
	v_fmac_f16_e32 v82, 0xb482, v70
	v_add_f16_e64 v215, v216, v215
	v_fmac_f16_e32 v85, 0x3853, v71
	v_fma_f16 v146, 0x3abb, v63, v84
	v_fma_f16 v84, v63, 0x3abb, -v84
	v_add_f16_e64 v82, v214, v82
	v_fmac_f16_e32 v88, 0xba0c, v72
	v_mul_f16_e32 v60, 0x36a6, v60
	v_add_f16_e64 v66, v146, v66
	v_add_f16_e64 v146, v144, v145
	v_add_f16_e32 v62, v84, v62
	v_add_f16_e32 v82, v85, v82
	v_fmac_f16_e32 v87, 0x3b47, v73
	v_fma_f16 v251, 0x3b47, v71, v60
	v_mul_f16_e64 v169, 0xb08e, v146
	v_fmac_f16_e64 v220, 0x3beb, v71
	v_add_f16_e32 v82, v88, v82
	v_fmac_f16_e64 v232, 0x3482, v71
	v_fmac_f16_e64 v242, 0xba0c, v71
	v_fma_f16 v193, 0x3beb, v74, v169
	v_fmac_f16_e32 v60, 0xbb47, v71
	v_add_f16_e32 v82, v87, v82
	v_fmac_f16_e64 v169, 0xbbeb, v74
	v_add_f16_e64 v59, v138, v59
	v_add_f16_e64 v67, v193, v67
	v_sub_f16_e64 v193, v141, v140
	v_add_f16_e64 v141, v141, v215
	v_add_f16_e64 v82, v169, v82
	s_delay_alu instid0(VALU_DEP_3) | instskip(NEXT) | instid1(VALU_DEP_3)
	v_mul_f16_e64 v217, 0xba0c, v193
	v_add_f16_e64 v141, v142, v141
	s_delay_alu instid0(VALU_DEP_2) | instskip(NEXT) | instid1(VALU_DEP_2)
	v_fma_f16 v218, 0xb93d, v64, v217
	v_add_f16_e64 v141, v145, v141
	v_fma_f16 v84, v64, 0xb93d, -v217
	s_delay_alu instid0(VALU_DEP_3) | instskip(SKIP_1) | instid1(VALU_DEP_4)
	v_add_f16_e64 v66, v218, v66
	v_mul_f16_e64 v218, 0xb93d, v68
	v_add_f16_e64 v141, v144, v141
	s_delay_alu instid0(VALU_DEP_4) | instskip(NEXT) | instid1(VALU_DEP_3)
	v_add_f16_e32 v62, v84, v62
	v_fma_f16 v219, 0x3a0c, v70, v218
	s_delay_alu instid0(VALU_DEP_3) | instskip(SKIP_1) | instid1(VALU_DEP_3)
	v_add_f16_e64 v141, v143, v141
	v_fmac_f16_e64 v218, 0xba0c, v70
	v_add_f16_e64 v219, v214, v219
	s_delay_alu instid0(VALU_DEP_3) | instskip(NEXT) | instid1(VALU_DEP_2)
	v_add_f16_e64 v140, v140, v141
	v_add_f16_e64 v219, v221, v219
	v_sub_f16_e64 v221, v142, v143
	s_delay_alu instid0(VALU_DEP_3) | instskip(SKIP_1) | instid1(VALU_DEP_3)
	v_add_f16_e64 v85, v139, v140
	v_mul_f16_e64 v142, 0xbbad, v146
	v_mul_f16_e64 v222, 0x3b47, v221
	s_delay_alu instid0(VALU_DEP_3) | instskip(NEXT) | instid1(VALU_DEP_2)
	v_add_f16_e32 v69, v69, v85
	v_fma_f16 v223, 0x36a6, v76, v222
	v_fma_f16 v84, v76, 0x36a6, -v222
	s_delay_alu instid0(VALU_DEP_3) | instskip(NEXT) | instid1(VALU_DEP_3)
	v_pack_b32_f16 v59, v59, v69
	v_add_f16_e64 v66, v223, v66
	v_mul_f16_e64 v223, 0x3abb, v86
	s_delay_alu instid0(VALU_DEP_4) | instskip(SKIP_1) | instid1(VALU_DEP_3)
	v_add_f16_e32 v62, v84, v62
	v_add_f16_e64 v84, v214, v218
	v_fma_f16 v224, 0x3853, v72, v223
	v_fmac_f16_e64 v223, 0xb853, v72
	s_delay_alu instid0(VALU_DEP_3) | instskip(NEXT) | instid1(VALU_DEP_3)
	v_add_f16_e64 v84, v220, v84
	v_add_f16_e64 v219, v224, v219
	v_sub_f16_e64 v224, v145, v144
	v_mul_f16_e64 v145, 0xbbeb, v193
	v_mul_f16_e64 v144, 0xba0c, v221
	v_add_f16_e64 v84, v223, v84
	s_delay_alu instid0(VALU_DEP_4) | instskip(SKIP_1) | instid1(VALU_DEP_2)
	v_mul_f16_e64 v225, 0xbbeb, v224
	v_mul_f16_e64 v143, 0xb482, v224
	v_fma_f16 v226, 0xb08e, v77, v225
	v_fma_f16 v85, v77, 0xb08e, -v225
	s_delay_alu instid0(VALU_DEP_2) | instskip(SKIP_1) | instid1(VALU_DEP_3)
	v_add_f16_e64 v66, v226, v66
	v_mul_f16_e64 v226, 0xbbad, v89
	v_add_f16_e32 v62, v85, v62
	s_delay_alu instid0(VALU_DEP_3) | instskip(NEXT) | instid1(VALU_DEP_3)
	v_pack_b32_f16 v66, v66, v67
	v_fma_f16 v227, 0x3482, v73, v226
	v_fmac_f16_e64 v226, 0xb482, v73
	s_delay_alu instid0(VALU_DEP_4) | instskip(NEXT) | instid1(VALU_DEP_3)
	v_pack_b32_f16 v62, v62, v82
	v_add_f16_e64 v219, v227, v219
	v_mul_f16_e64 v227, 0x36a6, v146
	s_delay_alu instid0(VALU_DEP_4) | instskip(NEXT) | instid1(VALU_DEP_2)
	v_add_f16_e64 v84, v226, v84
	v_fma_f16 v228, 0xbb47, v74, v227
	v_fmac_f16_e64 v227, 0x3b47, v74
	s_delay_alu instid0(VALU_DEP_2) | instskip(SKIP_1) | instid1(VALU_DEP_3)
	v_add_f16_e64 v219, v228, v219
	v_mul_f16_e64 v228, 0x3beb, v90
	v_add_f16_e64 v84, v227, v84
	s_delay_alu instid0(VALU_DEP_2) | instskip(SKIP_1) | instid1(VALU_DEP_2)
	v_fma_f16 v229, 0xb08e, v63, v228
	v_fma_f16 v85, v63, 0xb08e, -v228
	v_add_f16_e64 v65, v229, v65
	v_mul_f16_e64 v229, 0xb853, v193
	s_delay_alu instid0(VALU_DEP_3) | instskip(NEXT) | instid1(VALU_DEP_2)
	v_add_f16_e32 v78, v85, v78
	v_fma_f16 v230, 0x3abb, v64, v229
	v_fma_f16 v85, v64, 0x3abb, -v229
	s_delay_alu instid0(VALU_DEP_2) | instskip(SKIP_1) | instid1(VALU_DEP_3)
	v_add_f16_e64 v65, v230, v65
	v_mul_f16_e64 v230, 0xb08e, v68
	v_add_f16_e32 v78, v85, v78
	s_delay_alu instid0(VALU_DEP_2) | instskip(SKIP_1) | instid1(VALU_DEP_2)
	v_fma_f16 v231, 0x3beb, v70, v230
	v_fmac_f16_e64 v230, 0xbbeb, v70
	v_add_f16_e64 v231, v214, v231
	s_delay_alu instid0(VALU_DEP_2) | instskip(NEXT) | instid1(VALU_DEP_2)
	v_add_f16_e64 v85, v214, v230
	v_add_f16_e64 v231, v233, v231
	v_mul_f16_e64 v233, 0xb482, v221
	s_delay_alu instid0(VALU_DEP_3) | instskip(NEXT) | instid1(VALU_DEP_2)
	v_add_f16_e64 v85, v232, v85
	v_fma_f16 v234, 0xbbad, v76, v233
	v_fma_f16 v87, v76, 0xbbad, -v233
	s_delay_alu instid0(VALU_DEP_2) | instskip(SKIP_1) | instid1(VALU_DEP_3)
	v_add_f16_e64 v65, v234, v65
	v_mul_f16_e64 v234, 0x36a6, v86
	v_add_f16_e32 v78, v87, v78
	s_delay_alu instid0(VALU_DEP_2) | instskip(SKIP_1) | instid1(VALU_DEP_2)
	v_fma_f16 v235, 0xbb47, v72, v234
	v_fmac_f16_e64 v234, 0x3b47, v72
	v_add_f16_e64 v231, v235, v231
	v_mul_f16_e64 v235, 0x3b47, v224
	s_delay_alu instid0(VALU_DEP_3) | instskip(NEXT) | instid1(VALU_DEP_2)
	v_add_f16_e64 v85, v234, v85
	v_fma_f16 v236, 0x36a6, v77, v235
	s_delay_alu instid0(VALU_DEP_1) | instskip(SKIP_1) | instid1(VALU_DEP_2)
	v_add_f16_e64 v65, v236, v65
	v_mul_f16_e64 v236, 0x3abb, v89
	v_pack_b32_f16 v65, v65, v219
	s_delay_alu instid0(VALU_DEP_2) | instskip(SKIP_1) | instid1(VALU_DEP_2)
	v_fma_f16 v237, 0x3853, v73, v236
	v_fmac_f16_e64 v236, 0xb853, v73
	v_add_f16_e64 v231, v237, v231
	v_mul_f16_e64 v237, 0xb93d, v146
	s_delay_alu instid0(VALU_DEP_3) | instskip(NEXT) | instid1(VALU_DEP_2)
	v_add_f16_e64 v85, v236, v85
	v_fma_f16 v238, 0x3a0c, v74, v237
	v_fmac_f16_e64 v237, 0xba0c, v74
	s_delay_alu instid0(VALU_DEP_2) | instskip(SKIP_1) | instid1(VALU_DEP_3)
	v_add_f16_e64 v231, v238, v231
	v_mul_f16_e64 v238, 0x3482, v90
	v_add_f16_e64 v85, v237, v85
	s_delay_alu instid0(VALU_DEP_2) | instskip(SKIP_1) | instid1(VALU_DEP_2)
	v_fma_f16 v239, 0xbbad, v63, v238
	v_fma_f16 v87, v63, 0xbbad, -v238
	v_add_f16_e64 v75, v239, v75
	v_mul_f16_e64 v239, 0x3b47, v193
	s_delay_alu instid0(VALU_DEP_3) | instskip(NEXT) | instid1(VALU_DEP_2)
	v_add_f16_e32 v79, v87, v79
	v_fma_f16 v240, 0x36a6, v64, v239
	v_fma_f16 v88, v64, 0x36a6, -v239
	s_delay_alu instid0(VALU_DEP_2) | instskip(SKIP_2) | instid1(VALU_DEP_4)
	v_add_f16_e64 v75, v240, v75
	v_mul_f16_e64 v240, 0x36a6, v68
	v_mul_f16_e32 v68, 0x3abb, v68
	v_add_f16_e32 v79, v88, v79
	v_fma_f16 v88, v77, 0x36a6, -v235
	s_delay_alu instid0(VALU_DEP_4) | instskip(SKIP_1) | instid1(VALU_DEP_3)
	v_fma_f16 v241, 0x3b47, v70, v240
	v_fmac_f16_e64 v240, 0xbb47, v70
	v_add_f16_e32 v78, v88, v78
	s_delay_alu instid0(VALU_DEP_3) | instskip(NEXT) | instid1(VALU_DEP_3)
	v_add_f16_e64 v241, v214, v241
	v_add_f16_e64 v87, v214, v240
	s_delay_alu instid0(VALU_DEP_3) | instskip(NEXT) | instid1(VALU_DEP_3)
	v_pack_b32_f16 v67, v78, v84
	v_add_f16_e64 v241, v243, v241
	v_mul_f16_e64 v243, 0xb853, v221
	s_delay_alu instid0(VALU_DEP_4) | instskip(NEXT) | instid1(VALU_DEP_2)
	v_add_f16_e64 v87, v242, v87
	v_fma_f16 v244, 0x3abb, v76, v243
	s_delay_alu instid0(VALU_DEP_1) | instskip(SKIP_2) | instid1(VALU_DEP_2)
	v_add_f16_e64 v75, v244, v75
	v_mul_f16_e64 v244, 0xbbad, v86
	v_mul_f16_e32 v86, 0xb08e, v86
	v_fma_f16 v245, 0xb482, v72, v244
	v_fmac_f16_e64 v244, 0x3482, v72
	s_delay_alu instid0(VALU_DEP_2) | instskip(SKIP_1) | instid1(VALU_DEP_3)
	v_add_f16_e64 v241, v245, v241
	v_mul_f16_e64 v245, 0xba0c, v224
	v_add_f16_e64 v87, v244, v87
	s_delay_alu instid0(VALU_DEP_2) | instskip(NEXT) | instid1(VALU_DEP_1)
	v_fma_f16 v246, 0xb93d, v77, v245
	v_add_f16_e64 v75, v246, v75
	v_mul_f16_e64 v246, 0xb08e, v89
	v_mul_f16_e32 v89, 0xb93d, v89
	s_delay_alu instid0(VALU_DEP_3) | instskip(NEXT) | instid1(VALU_DEP_3)
	v_pack_b32_f16 v69, v75, v231
	v_fma_f16 v247, 0xbbeb, v73, v246
	s_delay_alu instid0(VALU_DEP_3) | instskip(SKIP_2) | instid1(VALU_DEP_4)
	v_fma_f16 v216, 0x3a0c, v73, v89
	v_fmac_f16_e64 v246, 0x3beb, v73
	v_fmac_f16_e32 v89, 0xba0c, v73
	v_add_f16_e64 v241, v247, v241
	v_mul_f16_e64 v247, 0x3abb, v146
	v_fma_f16 v146, 0x3482, v74, v142
	v_fmac_f16_e64 v142, 0xb482, v74
	s_delay_alu instid0(VALU_DEP_3) | instskip(SKIP_1) | instid1(VALU_DEP_2)
	v_fma_f16 v248, 0xb853, v74, v247
	v_fmac_f16_e64 v247, 0x3853, v74
	v_add_f16_e64 v241, v248, v241
	v_mul_f16_e64 v248, 0xba0c, v90
	v_mul_f16_e32 v90, 0xbb47, v90
	s_delay_alu instid0(VALU_DEP_2) | instskip(NEXT) | instid1(VALU_DEP_2)
	v_fma_f16 v249, 0xb93d, v63, v248
	v_fma_f16 v215, 0x36a6, v63, v90
	v_fma_f16 v71, v63, 0xb93d, -v248
	v_fma_f16 v63, v63, 0x36a6, -v90
	s_delay_alu instid0(VALU_DEP_4)
	v_add_f16_e64 v81, v249, v81
	v_mul_f16_e64 v249, 0x3482, v193
	v_add_f16_e64 v83, v215, v83
	v_fma_f16 v193, 0xb08e, v64, v145
	v_add_f16_e32 v71, v71, v80
	v_add_f16_e32 v61, v63, v61
	v_fma_f16 v250, 0xbbad, v64, v249
	v_fma_f16 v80, v64, 0xbbad, -v249
	v_add_f16_e64 v83, v193, v83
	v_fma_f16 v193, 0xb93d, v76, v144
	v_fma_f16 v63, v64, 0xb08e, -v145
	v_add_f16_e64 v81, v250, v81
	v_fma_f16 v250, 0x3853, v70, v68
	v_fmac_f16_e32 v68, 0xb853, v70
	v_fma_f16 v70, v76, 0x3abb, -v243
	v_add_f16_e32 v64, v80, v71
	v_add_f16_e64 v83, v193, v83
	v_add_f16_e64 v250, v214, v250
	;; [unrolled: 1-line block ×3, first 2 shown]
	v_fma_f16 v193, 0xbbad, v77, v143
	v_add_f16_e32 v61, v63, v61
	v_fma_f16 v63, v76, 0xb93d, -v144
	v_add_f16_e64 v250, v251, v250
	v_mul_f16_e64 v251, 0x3beb, v221
	v_add_f16_e32 v60, v60, v68
	v_add_f16_e32 v70, v70, v79
	v_add_f16_e64 v79, v246, v87
	v_fma_f16 v68, v77, 0xb93d, -v245
	v_fma_f16 v252, 0xb08e, v76, v251
	v_fma_f16 v71, v76, 0xb08e, -v251
	v_add_f16_e64 v83, v193, v83
	v_add_f16_e32 v61, v63, v61
	v_fma_f16 v63, v77, 0xbbad, -v143
	v_add_f16_e64 v81, v252, v81
	v_fma_f16 v252, 0x3beb, v72, v86
	v_fmac_f16_e32 v86, 0xbbeb, v72
	v_add_f16_e32 v64, v71, v64
	v_add_f16_e32 v68, v68, v70
	v_add_f16_e64 v70, v247, v79
	v_add_f16_e64 v250, v252, v250
	v_mul_f16_e64 v252, 0x3853, v224
	v_add_f16_e32 v60, v86, v60
	v_add_f16_e32 v61, v63, v61
	v_lshlrev_b32_e32 v63, 2, v147
	v_add_f16_e64 v216, v216, v250
	v_fma_f16 v253, 0x3abb, v77, v252
	v_fma_f16 v71, v77, 0x3abb, -v252
	v_add_f16_e32 v60, v89, v60
	v_pack_b32_f16 v68, v68, v85
	v_add_f16_e64 v146, v146, v216
	v_add_f16_e64 v81, v253, v81
	v_add_f16_e32 v64, v71, v64
	v_add_f16_e64 v60, v142, v60
	s_delay_alu instid0(VALU_DEP_4) | instskip(NEXT) | instid1(VALU_DEP_4)
	v_pack_b32_f16 v71, v83, v146
	v_pack_b32_f16 v72, v81, v241
	s_delay_alu instid0(VALU_DEP_4) | instskip(NEXT) | instid1(VALU_DEP_4)
	v_pack_b32_f16 v64, v64, v70
	v_pack_b32_f16 v60, v61, v60
	ds_store_2addr_b32 v63, v59, v71 offset1:1
	ds_store_2addr_b32 v63, v72, v69 offset0:2 offset1:3
	ds_store_2addr_b32 v63, v65, v66 offset0:4 offset1:5
	;; [unrolled: 1-line block ×4, first 2 shown]
	ds_store_b32 v63, v60 offset:40
.LBB0_13:
	s_wait_alu 0xfffe
	s_or_b32 exec_lo, exec_lo, s0
	v_add_nc_u32_e32 v70, 0x200, v91
	v_add_nc_u32_e32 v67, 0x800, v91
	global_wb scope:SCOPE_SE
	s_wait_dscnt 0x0
	s_barrier_signal -1
	s_barrier_wait -1
	global_inv scope:SCOPE_SE
	ds_load_2addr_b32 v[63:64], v91 offset1:55
	ds_load_2addr_b32 v[59:60], v70 offset0:92 offset1:147
	ds_load_2addr_b32 v[76:77], v67 offset0:38 offset1:93
	v_add_nc_u32_e32 v66, 0xc00, v91
	v_add_nc_u32_e32 v65, 0x1000, v91
	;; [unrolled: 1-line block ×3, first 2 shown]
	ds_load_2addr_b32 v[78:79], v66 offset0:2 offset1:57
	ds_load_2addr_b32 v[80:81], v65 offset0:76 offset1:131
	;; [unrolled: 1-line block ×6, first 2 shown]
	v_add_nc_u32_e32 v69, 0xe00, v91
	ds_load_2addr_b32 v[88:89], v65 offset0:186 offset1:241
	ds_load_2addr_b32 v[138:139], v68 offset0:184 offset1:239
	ds_load_2addr_b32 v[140:141], v69 offset0:94 offset1:149
	ds_load_b32 v145, v91 offset:5280
	global_wb scope:SCOPE_SE
	s_wait_dscnt 0x0
	s_barrier_signal -1
	s_barrier_wait -1
	global_inv scope:SCOPE_SE
	s_mov_b32 s8, 0x4a19b16e
	s_mov_b32 s9, 0x3f47d4ce
	v_lshrrev_b32_e32 v90, 16, v60
	v_lshrrev_b32_e32 v142, 16, v76
	;; [unrolled: 1-line block ×5, first 2 shown]
	v_mul_f16_e64 v222, v172, v90
	v_lshrrev_b32_e32 v147, 16, v77
	v_mul_f16_e64 v227, v170, v143
	v_lshrrev_b32_e32 v169, 16, v84
	v_lshrrev_b32_e32 v193, 16, v81
	v_fmac_f16_e64 v222, v16, v60
	v_mul_f16_e64 v60, v172, v60
	v_mul_f16_e64 v172, v171, v142
	;; [unrolled: 1-line block ×4, first 2 shown]
	v_fmac_f16_e64 v227, v18, v79
	v_fma_f16 v16, v16, v90, -v60
	v_fmac_f16_e64 v172, v17, v76
	v_fma_f16 v17, v17, v142, -v171
	v_mul_f16_e64 v60, v168, v144
	v_mul_f16_e64 v76, v168, v80
	;; [unrolled: 1-line block ×5, first 2 shown]
	v_lshrrev_b32_e32 v214, 16, v83
	v_lshrrev_b32_e32 v215, 16, v86
	;; [unrolled: 1-line block ×3, first 2 shown]
	v_fmac_f16_e32 v60, v19, v80
	v_fma_f16 v19, v19, v144, -v76
	v_fmac_f16_e32 v79, v12, v82
	v_fma_f16 v12, v12, v146, -v90
	v_fmac_f16_e64 v142, v13, v77
	v_mul_f16_e64 v76, v165, v77
	v_mul_f16_e64 v77, v163, v169
	;; [unrolled: 1-line block ×5, first 2 shown]
	v_lshrrev_b32_e32 v218, 16, v138
	v_fma_f16 v13, v13, v147, -v76
	v_fmac_f16_e32 v77, v14, v84
	v_fma_f16 v14, v14, v169, -v80
	v_fmac_f16_e32 v82, v15, v81
	v_fma_f16 v15, v15, v193, -v90
	v_mul_f16_e64 v76, v159, v214
	v_mul_f16_e64 v80, v159, v83
	;; [unrolled: 1-line block ×4, first 2 shown]
	v_lshrrev_b32_e32 v217, 16, v88
	v_lshrrev_b32_e32 v219, 16, v87
	;; [unrolled: 1-line block ×3, first 2 shown]
	v_mul_f16_e64 v84, v156, v86
	v_fmac_f16_e32 v76, v8, v83
	v_fma_f16 v80, v8, v214, -v80
	v_fmac_f16_e32 v81, v9, v86
	v_fmac_f16_e32 v90, v10, v85
	v_mul_f16_e64 v8, v154, v85
	v_mul_f16_e64 v85, v160, v218
	;; [unrolled: 1-line block ×3, first 2 shown]
	v_lshrrev_b32_e32 v221, 16, v89
	v_lshrrev_b32_e32 v223, 16, v139
	;; [unrolled: 1-line block ×3, first 2 shown]
	v_fma_f16 v18, v18, v143, -v170
	v_fma_f16 v83, v9, v215, -v84
	v_mul_f16_e64 v84, v152, v217
	v_mul_f16_e64 v9, v152, v88
	v_fma_f16 v143, v10, v216, -v8
	v_fmac_f16_e64 v85, v4, v138
	v_fma_f16 v86, v4, v218, -v86
	v_mul_f16_e64 v138, v157, v219
	v_mul_f16_e64 v4, v157, v87
	;; [unrolled: 1-line block ×4, first 2 shown]
	v_fmac_f16_e32 v84, v11, v88
	v_fma_f16 v88, v11, v217, -v9
	v_mul_f16_e64 v146, v153, v221
	v_fmac_f16_e64 v138, v5, v87
	v_fma_f16 v87, v5, v219, -v4
	v_fmac_f16_e64 v144, v6, v140
	v_fma_f16 v140, v6, v220, -v8
	v_mul_f16_e64 v4, v153, v89
	v_mul_f16_e64 v8, v151, v223
	v_mul_f16_e64 v6, v151, v139
	v_mul_f16_e64 v5, v150, v224
	v_mul_f16_e64 v9, v150, v78
	v_lshrrev_b32_e32 v225, 16, v141
	v_lshrrev_b32_e32 v226, 16, v145
	v_fmac_f16_e64 v146, v7, v89
	v_fma_f16 v89, v7, v221, -v4
	v_fmac_f16_e64 v8, v0, v139
	v_fma_f16 v4, v0, v223, -v6
	v_fmac_f16_e32 v5, v1, v78
	v_fma_f16 v1, v1, v224, -v9
	v_add_f16_e64 v0, v172, v227
	v_mul_f16_e64 v6, v149, v141
	v_add_f16_e64 v9, v63, v222
	v_mul_f16_e64 v10, v149, v225
	v_mul_f16_e64 v78, v148, v226
	v_fma_f16 v0, -0.5, v0, v63
	v_sub_f16_e64 v139, v16, v19
	v_fma_f16 v7, v2, v225, -v6
	v_add_f16_e64 v6, v9, v172
	v_lshrrev_b32_e32 v75, 16, v63
	v_fmac_f16_e64 v10, v2, v141
	v_fmac_f16_e64 v78, v3, v145
	v_fma_f16 v2, 0xbb9c, v139, v0
	v_sub_f16_e64 v141, v17, v18
	v_sub_f16_e64 v9, v222, v172
	;; [unrolled: 1-line block ×3, first 2 shown]
	v_add_f16_e64 v147, v222, v60
	v_mul_f16_e64 v145, v148, v145
	v_add_f16_e64 v148, v6, v227
	v_fmac_f16_e64 v0, 0x3b9c, v139
	v_fmac_f16_e64 v2, 0xb8b4, v141
	v_add_f16_e64 v149, v9, v11
	v_fma_f16 v6, -0.5, v147, v63
	v_fma_f16 v11, v3, v226, -v145
	v_add_f16_e64 v3, v148, v60
	v_sub_f16_e64 v63, v172, v222
	v_sub_f16_e64 v145, v227, v60
	v_fmac_f16_e64 v0, 0x38b4, v141
	v_add_f16_e64 v147, v75, v16
	v_add_f16_e64 v148, v17, v18
	v_fmac_f16_e64 v2, 0x34f2, v149
	v_fma_f16 v9, 0x3b9c, v141, v6
	v_add_f16_e64 v63, v63, v145
	v_fmac_f16_e64 v6, 0xbb9c, v141
	v_add_f16_e64 v141, v147, v17
	v_fma_f16 v145, -0.5, v148, v75
	v_sub_f16_e64 v60, v222, v60
	v_fmac_f16_e64 v0, 0x34f2, v149
	v_add_f16_e64 v147, v16, v19
	v_sub_f16_e64 v149, v16, v17
	v_sub_f16_e32 v16, v17, v16
	v_sub_f16_e32 v17, v18, v19
	v_fmac_f16_e64 v9, 0xb8b4, v139
	v_fmac_f16_e64 v6, 0x38b4, v139
	v_add_f16_e64 v139, v141, v18
	v_fma_f16 v141, 0x3b9c, v60, v145
	v_sub_f16_e64 v148, v172, v227
	v_sub_f16_e64 v150, v19, v18
	v_fmac_f16_e64 v75, -0.5, v147
	v_fmac_f16_e64 v145, 0xbb9c, v60
	v_add_f16_e64 v18, v142, v77
	v_add_f16_e32 v16, v16, v17
	v_add_f16_e32 v17, v64, v79
	v_lshrrev_b32_e32 v73, 16, v64
	v_fmac_f16_e32 v9, 0x34f2, v63
	v_fmac_f16_e32 v6, 0x34f2, v63
	v_add_f16_e64 v63, v139, v19
	v_fmac_f16_e64 v141, 0x38b4, v148
	v_add_f16_e64 v139, v149, v150
	v_fma_f16 v147, 0xbb9c, v148, v75
	v_fmac_f16_e64 v145, 0xb8b4, v148
	v_fma_f16 v18, -0.5, v18, v64
	v_sub_f16_e32 v19, v12, v15
	v_fmac_f16_e64 v75, 0x3b9c, v148
	v_add_f16_e64 v17, v17, v142
	v_sub_f16_e64 v149, v79, v142
	v_sub_f16_e64 v150, v82, v77
	v_add_f16_e64 v151, v79, v82
	v_fmac_f16_e64 v141, 0x34f2, v139
	v_fmac_f16_e64 v147, 0x38b4, v60
	v_fmac_f16_e64 v145, 0x34f2, v139
	v_fma_f16 v139, 0xbb9c, v19, v18
	v_sub_f16_e64 v148, v13, v14
	v_fmac_f16_e32 v75, 0xb8b4, v60
	v_add_f16_e32 v17, v17, v77
	v_add_f16_e64 v60, v149, v150
	v_fmac_f16_e64 v64, -0.5, v151
	v_fmac_f16_e32 v18, 0x3b9c, v19
	v_sub_f16_e64 v149, v142, v79
	v_sub_f16_e64 v150, v77, v82
	v_add_f16_e64 v151, v73, v12
	v_add_f16_e64 v152, v13, v14
	v_fmac_f16_e64 v147, 0x34f2, v16
	v_fmac_f16_e64 v139, 0xb8b4, v148
	v_fmac_f16_e32 v75, 0x34f2, v16
	v_add_f16_e32 v16, v17, v82
	v_fma_f16 v17, 0x3b9c, v148, v64
	v_fmac_f16_e64 v18, 0x38b4, v148
	v_add_f16_e64 v149, v149, v150
	v_fmac_f16_e64 v64, 0xbb9c, v148
	v_add_f16_e64 v148, v151, v13
	v_fma_f16 v150, -0.5, v152, v73
	v_sub_f16_e32 v79, v79, v82
	v_add_f16_e32 v82, v12, v15
	v_sub_f16_e64 v77, v142, v77
	v_sub_f16_e64 v142, v12, v13
	v_sub_f16_e32 v12, v13, v12
	v_sub_f16_e32 v13, v14, v15
	v_fmac_f16_e64 v139, 0x34f2, v60
	v_fmac_f16_e32 v17, 0xb8b4, v19
	v_fmac_f16_e32 v18, 0x34f2, v60
	v_fmac_f16_e32 v64, 0x38b4, v19
	v_add_f16_e64 v19, v148, v14
	v_fma_f16 v60, 0x3b9c, v79, v150
	v_sub_f16_e64 v148, v15, v14
	v_fmac_f16_e32 v73, -0.5, v82
	v_fmac_f16_e64 v150, 0xbb9c, v79
	v_add_f16_e32 v14, v81, v90
	v_add_f16_e32 v12, v12, v13
	;; [unrolled: 1-line block ×3, first 2 shown]
	v_lshrrev_b32_e32 v74, 16, v61
	v_add_f16_e32 v19, v19, v15
	v_fmac_f16_e32 v60, 0x38b4, v77
	v_add_f16_e64 v82, v142, v148
	v_fma_f16 v142, 0xbb9c, v77, v73
	v_fmac_f16_e64 v150, 0xb8b4, v77
	v_fma_f16 v14, -0.5, v14, v61
	v_sub_f16_e32 v15, v80, v88
	v_fmac_f16_e32 v73, 0x3b9c, v77
	v_add_f16_e32 v13, v13, v81
	v_add_f16_e64 v151, v76, v84
	v_fmac_f16_e64 v17, 0x34f2, v149
	v_fmac_f16_e64 v64, 0x34f2, v149
	v_fmac_f16_e32 v60, 0x34f2, v82
	v_fmac_f16_e64 v142, 0x38b4, v79
	v_fmac_f16_e64 v150, 0x34f2, v82
	v_fmamk_f16 v77, v15, 0xbb9c, v14
	v_sub_f16_e64 v82, v83, v143
	v_sub_f16_e64 v148, v76, v81
	;; [unrolled: 1-line block ×3, first 2 shown]
	v_fmac_f16_e32 v73, 0xb8b4, v79
	v_add_f16_e32 v13, v13, v90
	v_fma_f16 v61, -0.5, v151, v61
	v_fmac_f16_e32 v14, 0x3b9c, v15
	v_add_f16_e64 v151, v74, v80
	v_fmac_f16_e64 v142, 0x34f2, v12
	v_fmac_f16_e32 v77, 0xb8b4, v82
	v_add_f16_e64 v79, v148, v149
	v_fmac_f16_e32 v73, 0x34f2, v12
	v_add_f16_e32 v12, v13, v84
	v_fmamk_f16 v13, v82, 0x3b9c, v61
	v_sub_f16_e64 v148, v81, v76
	v_sub_f16_e64 v149, v90, v84
	v_fmac_f16_e32 v14, 0x38b4, v82
	v_add_f16_e64 v152, v83, v143
	v_fmac_f16_e32 v61, 0xbb9c, v82
	v_add_f16_e64 v82, v151, v83
	;; [unrolled: 2-line block ×3, first 2 shown]
	v_fma_f16 v149, -0.5, v152, v74
	v_sub_f16_e32 v76, v76, v84
	v_fmac_f16_e32 v61, 0x38b4, v15
	v_add_f16_e64 v15, v82, v143
	v_add_f16_e32 v82, v80, v88
	v_fmac_f16_e32 v77, 0x34f2, v79
	v_fmac_f16_e32 v14, 0x34f2, v79
	v_fma_f16 v79, 0x3b9c, v76, v149
	v_sub_f16_e32 v81, v81, v90
	v_sub_f16_e32 v84, v80, v83
	v_sub_f16_e64 v90, v88, v143
	v_fmac_f16_e32 v74, -0.5, v82
	v_add_f16_e32 v15, v15, v88
	v_fmac_f16_e64 v149, 0xbb9c, v76
	v_sub_f16_e32 v80, v83, v80
	v_sub_f16_e64 v83, v143, v88
	v_add_f16_e64 v88, v138, v144
	v_lshrrev_b32_e32 v72, 16, v62
	v_fmac_f16_e32 v79, 0x38b4, v81
	v_add_f16_e32 v82, v84, v90
	v_fmamk_f16 v84, v81, 0xbb9c, v74
	v_fmac_f16_e64 v149, 0xb8b4, v81
	v_add_f16_e32 v80, v80, v83
	v_add_f16_e32 v83, v62, v85
	v_fma_f16 v88, -0.5, v88, v62
	v_sub_f16_e32 v90, v86, v89
	v_fmac_f16_e32 v74, 0x3b9c, v81
	v_add_f16_e64 v151, v85, v146
	v_fmac_f16_e64 v13, 0x34f2, v148
	v_fmac_f16_e64 v61, 0x34f2, v148
	v_fmac_f16_e32 v79, 0x34f2, v82
	v_fmac_f16_e32 v84, 0x38b4, v76
	v_fmac_f16_e64 v149, 0x34f2, v82
	v_add_f16_e64 v81, v83, v138
	v_fmamk_f16 v82, v90, 0xbb9c, v88
	v_sub_f16_e64 v83, v87, v140
	v_sub_f16_e64 v143, v85, v138
	;; [unrolled: 1-line block ×3, first 2 shown]
	v_fmac_f16_e32 v74, 0xb8b4, v76
	v_fmac_f16_e64 v62, -0.5, v151
	v_fmac_f16_e32 v88, 0x3b9c, v90
	v_add_f16_e64 v151, v72, v86
	v_fmac_f16_e32 v84, 0x34f2, v80
	v_add_f16_e64 v76, v81, v144
	v_fmac_f16_e32 v82, 0xb8b4, v83
	v_add_f16_e64 v81, v143, v148
	v_fmac_f16_e32 v74, 0x34f2, v80
	v_fmamk_f16 v80, v83, 0x3b9c, v62
	v_sub_f16_e64 v143, v138, v85
	v_sub_f16_e64 v148, v144, v146
	v_fmac_f16_e32 v88, 0x38b4, v83
	v_add_f16_e64 v152, v87, v140
	v_fmac_f16_e32 v62, 0xbb9c, v83
	v_add_f16_e64 v83, v151, v87
	v_fmac_f16_e32 v82, 0x34f2, v81
	v_fmac_f16_e32 v80, 0xb8b4, v90
	v_add_f16_e64 v143, v143, v148
	v_fma_f16 v148, -0.5, v152, v72
	v_sub_f16_e64 v85, v85, v146
	v_fmac_f16_e32 v88, 0x34f2, v81
	v_fmac_f16_e32 v62, 0x38b4, v90
	v_add_f16_e64 v81, v83, v140
	v_add_f16_e32 v90, v86, v89
	v_add_f16_e64 v76, v76, v146
	v_fma_f16 v83, 0x3b9c, v85, v148
	v_sub_f16_e64 v138, v138, v144
	v_sub_f16_e64 v144, v86, v87
	;; [unrolled: 1-line block ×3, first 2 shown]
	v_fmac_f16_e32 v72, -0.5, v90
	v_add_f16_e32 v81, v81, v89
	v_fmac_f16_e64 v148, 0xbb9c, v85
	v_sub_f16_e32 v86, v87, v86
	v_sub_f16_e64 v87, v140, v89
	v_add_f16_e32 v89, v5, v10
	v_fmac_f16_e64 v80, 0x34f2, v143
	v_fmac_f16_e64 v62, 0x34f2, v143
	;; [unrolled: 1-line block ×3, first 2 shown]
	v_add_f16_e64 v90, v144, v146
	v_fma_f16 v143, 0xbb9c, v138, v72
	v_fmac_f16_e64 v148, 0xb8b4, v138
	v_add_f16_e32 v86, v86, v87
	v_fmac_f16_e64 v72, 0x3b9c, v138
	v_add_f16_e32 v87, v59, v8
	v_fma_f16 v89, -0.5, v89, v59
	v_sub_f16_e64 v138, v4, v11
	v_fmac_f16_e32 v83, 0x34f2, v90
	v_fmac_f16_e64 v143, 0x38b4, v85
	v_fmac_f16_e64 v148, 0x34f2, v90
	v_fmac_f16_e32 v72, 0xb8b4, v85
	v_add_f16_e32 v85, v87, v5
	v_fma_f16 v87, 0xbb9c, v138, v89
	v_sub_f16_e32 v90, v1, v7
	v_sub_f16_e64 v140, v8, v5
	v_sub_f16_e64 v144, v78, v10
	v_fmac_f16_e64 v89, 0x3b9c, v138
	v_add_f16_e64 v146, v8, v78
	v_lshrrev_b32_e32 v71, 16, v59
	v_add_f16_e32 v85, v85, v10
	v_fmac_f16_e32 v87, 0xb8b4, v90
	v_add_f16_e64 v140, v140, v144
	v_fmac_f16_e32 v89, 0x38b4, v90
	v_fmac_f16_e64 v59, -0.5, v146
	v_sub_f16_e64 v144, v5, v8
	v_sub_f16_e64 v146, v10, v78
	v_fmac_f16_e64 v143, 0x34f2, v86
	v_fmac_f16_e32 v72, 0x34f2, v86
	v_add_f16_e32 v85, v85, v78
	v_fmac_f16_e64 v87, 0x34f2, v140
	v_fmac_f16_e64 v89, 0x34f2, v140
	v_fmamk_f16 v86, v90, 0x3b9c, v59
	v_add_f16_e64 v140, v1, v7
	v_fmac_f16_e32 v59, 0xbb9c, v90
	v_sub_f16_e32 v8, v8, v78
	v_add_f16_e64 v78, v144, v146
	v_add_f16_e64 v144, v4, v11
	v_add_f16_e32 v90, v71, v4
	v_fma_f16 v140, -0.5, v140, v71
	v_fmac_f16_e64 v86, 0xb8b4, v138
	v_fmac_f16_e64 v59, 0x38b4, v138
	v_sub_f16_e32 v5, v5, v10
	v_fmac_f16_e64 v71, -0.5, v144
	v_add_f16_e32 v90, v90, v1
	v_fmac_f16_e32 v86, 0x34f2, v78
	v_fmac_f16_e32 v59, 0x34f2, v78
	v_sub_f16_e32 v78, v4, v1
	v_fma_f16 v144, 0xbb9c, v5, v71
	v_sub_f16_e32 v1, v1, v4
	v_sub_f16_e32 v4, v7, v11
	v_fmac_f16_e32 v71, 0x3b9c, v5
	v_fma_f16 v138, 0x3b9c, v8, v140
	v_add_f16_e32 v10, v90, v7
	v_sub_f16_e32 v90, v11, v7
	v_fmac_f16_e64 v140, 0xbb9c, v8
	v_fmac_f16_e64 v144, 0x38b4, v8
	v_add_f16_e32 v1, v1, v4
	v_fmac_f16_e32 v71, 0xb8b4, v8
	v_fmac_f16_e64 v138, 0x38b4, v5
	v_add_f16_e32 v7, v78, v90
	v_fmac_f16_e64 v140, 0xb8b4, v5
	v_fmac_f16_e64 v144, 0x34f2, v1
	v_fmac_f16_e32 v71, 0x34f2, v1
	v_pack_b32_f16 v1, v3, v63
	v_pack_b32_f16 v2, v2, v141
	;; [unrolled: 1-line block ×5, first 2 shown]
	v_fmac_f16_e64 v138, 0x34f2, v7
	v_fmac_f16_e64 v140, 0x34f2, v7
	v_pack_b32_f16 v6, v16, v19
	v_pack_b32_f16 v7, v139, v60
	;; [unrolled: 1-line block ×4, first 2 shown]
	ds_store_2addr_b32 v158, v1, v2 offset1:11
	ds_store_2addr_b32 v158, v3, v5 offset0:22 offset1:33
	ds_store_b32 v158, v0 offset:176
	ds_store_2addr_b32 v162, v6, v7 offset1:11
	ds_store_2addr_b32 v162, v8, v9 offset0:22 offset1:33
	v_pack_b32_f16 v0, v18, v150
	v_pack_b32_f16 v1, v12, v15
	;; [unrolled: 1-line block ×3, first 2 shown]
	v_add_f16_e32 v4, v10, v11
	v_pack_b32_f16 v3, v13, v84
	v_pack_b32_f16 v5, v61, v74
	;; [unrolled: 1-line block ×5, first 2 shown]
	ds_store_b32 v162, v0 offset:176
	ds_store_2addr_b32 v164, v1, v2 offset1:11
	ds_store_2addr_b32 v164, v3, v5 offset0:22 offset1:33
	ds_store_b32 v164, v6 offset:176
	ds_store_2addr_b32 v166, v7, v8 offset1:11
	v_pack_b32_f16 v0, v80, v143
	v_pack_b32_f16 v1, v62, v72
	v_pack_b32_f16 v2, v88, v148
	v_pack_b32_f16 v3, v85, v4
	v_pack_b32_f16 v4, v87, v138
	v_pack_b32_f16 v5, v86, v144
	v_pack_b32_f16 v6, v59, v71
	v_pack_b32_f16 v7, v89, v140
	ds_store_2addr_b32 v166, v0, v1 offset0:22 offset1:33
	ds_store_b32 v166, v2 offset:176
	ds_store_2addr_b32 v190, v3, v4 offset1:11
	ds_store_2addr_b32 v190, v5, v6 offset0:22 offset1:33
	ds_store_b32 v190, v7 offset:176
	global_wb scope:SCOPE_SE
	s_wait_dscnt 0x0
	s_barrier_signal -1
	s_barrier_wait -1
	global_inv scope:SCOPE_SE
	ds_load_2addr_b32 v[4:5], v91 offset1:55
	ds_load_2addr_b32 v[0:1], v70 offset0:92 offset1:147
	ds_load_2addr_b32 v[11:12], v67 offset0:38 offset1:93
	;; [unrolled: 1-line block ×11, first 2 shown]
	ds_load_b32 v78, v91 offset:5280
	global_wb scope:SCOPE_SE
	s_wait_dscnt 0x0
	s_barrier_signal -1
	s_barrier_wait -1
	global_inv scope:SCOPE_SE
	v_lshrrev_b32_e32 v10, 16, v4
	v_lshrrev_b32_e32 v19, 16, v1
	;; [unrolled: 1-line block ×4, first 2 shown]
	v_mul_f16_e64 v146, v186, v14
	v_lshrrev_b32_e32 v79, 16, v17
	v_mul_f16_e64 v138, v188, v19
	v_mul_f16_e64 v143, v187, v75
	v_lshrrev_b32_e32 v77, 16, v15
	v_lshrrev_b32_e32 v80, 16, v12
	;; [unrolled: 1-line block ×3, first 2 shown]
	v_fmac_f16_e64 v138, v32, v1
	v_mul_f16_e64 v1, v188, v1
	v_mul_f16_e64 v144, v187, v11
	;; [unrolled: 1-line block ×3, first 2 shown]
	v_fmac_f16_e64 v143, v33, v11
	v_fma_f16 v76, v34, v76, -v146
	v_fma_f16 v147, v32, v19, -v1
	v_mul_f16_e64 v1, v185, v15
	v_mul_f16_e64 v146, v188, v79
	;; [unrolled: 1-line block ×3, first 2 shown]
	v_lshrrev_b32_e32 v83, 16, v18
	v_lshrrev_b32_e32 v85, 16, v60
	v_fma_f16 v75, v33, v75, -v144
	v_mul_f16_e64 v144, v185, v77
	v_mul_f16_e64 v148, v187, v80
	v_fma_f16 v77, v35, v77, -v1
	v_fmac_f16_e64 v146, v32, v17
	v_fma_f16 v32, v32, v79, -v11
	v_mul_f16_e64 v1, v187, v12
	v_mul_f16_e64 v79, v186, v81
	;; [unrolled: 1-line block ×3, first 2 shown]
	v_lshrrev_b32_e32 v84, 16, v61
	v_lshrrev_b32_e32 v86, 16, v63
	v_fmac_f16_e64 v145, v34, v14
	v_fmac_f16_e64 v148, v33, v12
	v_fma_f16 v33, v33, v80, -v1
	v_fmac_f16_e32 v79, v34, v59
	v_fma_f16 v34, v34, v81, -v11
	v_mul_f16_e64 v59, v184, v83
	v_mul_f16_e64 v1, v184, v18
	;; [unrolled: 1-line block ×3, first 2 shown]
	v_lshrrev_b32_e32 v82, 16, v16
	v_lshrrev_b32_e32 v88, 16, v62
	v_mul_f16_e64 v80, v183, v84
	v_mul_f16_e64 v11, v183, v61
	v_fmac_f16_e32 v59, v28, v18
	v_fma_f16 v28, v28, v83, -v1
	v_fmac_f16_e32 v81, v30, v60
	v_mul_f16_e64 v1, v182, v60
	v_mul_f16_e64 v60, v181, v86
	v_lshrrev_b32_e32 v87, 16, v71
	v_lshrrev_b32_e32 v90, 16, v64
	v_mul_f16_e64 v149, v185, v82
	v_mul_f16_e64 v12, v185, v16
	v_fmac_f16_e32 v80, v29, v61
	v_fma_f16 v29, v29, v84, -v11
	v_mul_f16_e64 v11, v181, v63
	v_fma_f16 v30, v30, v85, -v1
	v_fmac_f16_e32 v60, v31, v63
	v_mul_f16_e64 v63, v179, v88
	v_mul_f16_e64 v1, v179, v62
	v_lshrrev_b32_e32 v89, 16, v73
	v_lshrrev_b32_e32 v140, 16, v13
	v_fmac_f16_e64 v144, v35, v15
	v_fmac_f16_e64 v149, v35, v16
	v_fma_f16 v35, v35, v82, -v12
	v_mul_f16_e64 v61, v180, v87
	v_mul_f16_e64 v82, v177, v90
	v_fmac_f16_e32 v63, v25, v62
	v_fma_f16 v25, v25, v88, -v1
	v_mul_f16_e64 v1, v177, v64
	v_lshrrev_b32_e32 v139, 16, v72
	v_lshrrev_b32_e32 v141, 16, v74
	v_mul_f16_e64 v12, v180, v71
	v_fma_f16 v31, v31, v86, -v11
	v_fmac_f16_e32 v61, v24, v71
	v_mul_f16_e64 v71, v178, v89
	v_mul_f16_e64 v11, v178, v73
	v_fmac_f16_e32 v82, v27, v64
	v_mul_f16_e64 v14, v175, v140
	v_fma_f16 v27, v27, v90, -v1
	v_add_f16_e64 v1, v143, v145
	v_lshrrev_b32_e32 v142, 16, v78
	v_fma_f16 v24, v24, v87, -v12
	v_fmac_f16_e32 v71, v26, v73
	v_fma_f16 v26, v26, v89, -v11
	v_mul_f16_e64 v15, v176, v139
	v_mul_f16_e64 v11, v176, v72
	;; [unrolled: 1-line block ×3, first 2 shown]
	v_fmac_f16_e32 v14, v21, v13
	v_mul_f16_e64 v19, v174, v141
	v_mul_f16_e64 v13, v174, v74
	v_fma_f16 v1, -0.5, v1, v4
	v_sub_f16_e64 v62, v147, v77
	v_fmac_f16_e32 v15, v20, v72
	v_fma_f16 v11, v20, v139, -v11
	v_fma_f16 v12, v21, v140, -v12
	v_mul_f16_e64 v21, v173, v142
	v_fmac_f16_e32 v19, v22, v74
	v_fma_f16 v16, v22, v141, -v13
	v_fmamk_f16 v13, v62, 0xbb9c, v1
	v_sub_f16_e32 v22, v75, v76
	v_sub_f16_e64 v18, v138, v143
	v_sub_f16_e64 v20, v144, v145
	v_add_f16_e64 v64, v138, v144
	v_mul_f16_e64 v72, v173, v78
	v_fmac_f16_e32 v1, 0x3b9c, v62
	v_add_f16_e64 v17, v4, v138
	v_fmac_f16_e32 v21, v23, v78
	v_fmac_f16_e32 v13, 0xb8b4, v22
	v_add_f16_e32 v73, v18, v20
	v_fma_f16 v4, -0.5, v64, v4
	v_fma_f16 v20, v23, v142, -v72
	v_sub_f16_e64 v23, v143, v138
	v_sub_f16_e64 v64, v145, v144
	v_fmac_f16_e32 v1, 0x38b4, v22
	v_add_f16_e64 v72, v10, v147
	v_add_f16_e32 v74, v75, v76
	v_fmac_f16_e32 v13, 0x34f2, v73
	v_fmamk_f16 v18, v22, 0x3b9c, v4
	v_add_f16_e32 v23, v23, v64
	v_fmac_f16_e32 v4, 0xbb9c, v22
	v_add_f16_e32 v22, v72, v75
	v_fma_f16 v64, -0.5, v74, v10
	v_sub_f16_e64 v72, v138, v144
	v_fmac_f16_e32 v1, 0x34f2, v73
	v_add_f16_e64 v73, v147, v77
	v_fmac_f16_e32 v18, 0xb8b4, v62
	v_fmac_f16_e32 v4, 0x38b4, v62
	v_add_f16_e32 v22, v22, v76
	v_fmamk_f16 v62, v72, 0x3b9c, v64
	v_sub_f16_e64 v74, v143, v145
	v_sub_f16_e64 v78, v147, v75
	v_sub_f16_e32 v83, v77, v76
	v_fmac_f16_e32 v10, -0.5, v73
	v_fmac_f16_e32 v64, 0xbb9c, v72
	v_sub_f16_e64 v75, v75, v147
	v_sub_f16_e32 v76, v76, v77
	v_fmac_f16_e32 v18, 0x34f2, v23
	v_fmac_f16_e32 v4, 0x34f2, v23
	v_add_f16_e32 v22, v22, v77
	v_fmac_f16_e32 v62, 0x38b4, v74
	v_add_f16_e32 v23, v78, v83
	v_fmamk_f16 v73, v74, 0xbb9c, v10
	v_add_f16_e64 v77, v148, v79
	v_fmac_f16_e32 v64, 0xb8b4, v74
	v_add_f16_e32 v75, v75, v76
	v_add_f16_e64 v76, v5, v146
	v_fmac_f16_e32 v10, 0x3b9c, v74
	v_add_f16_e64 v85, v146, v149
	v_lshrrev_b32_e32 v8, 16, v5
	v_fmac_f16_e32 v62, 0x34f2, v23
	v_fmac_f16_e32 v73, 0x38b4, v72
	v_fma_f16 v77, -0.5, v77, v5
	v_sub_f16_e32 v78, v32, v35
	v_fmac_f16_e32 v64, 0x34f2, v23
	v_add_f16_e64 v23, v76, v148
	v_sub_f16_e32 v76, v33, v34
	v_sub_f16_e64 v83, v146, v148
	v_sub_f16_e64 v84, v149, v79
	v_fmac_f16_e32 v10, 0xb8b4, v72
	v_fmac_f16_e32 v5, -0.5, v85
	v_fmac_f16_e32 v73, 0x34f2, v75
	v_fmamk_f16 v74, v78, 0xbb9c, v77
	v_add_f16_e32 v72, v83, v84
	v_fmac_f16_e32 v10, 0x34f2, v75
	v_fmac_f16_e32 v77, 0x3b9c, v78
	v_fmamk_f16 v75, v76, 0x3b9c, v5
	v_sub_f16_e64 v83, v148, v146
	v_sub_f16_e64 v84, v79, v149
	v_add_f16_e32 v85, v8, v32
	v_add_f16_e32 v86, v33, v34
	v_fmac_f16_e32 v5, 0xbb9c, v76
	v_fmac_f16_e32 v74, 0xb8b4, v76
	;; [unrolled: 1-line block ×4, first 2 shown]
	v_add_f16_e32 v83, v83, v84
	v_add_f16_e32 v76, v85, v33
	v_fma_f16 v84, -0.5, v86, v8
	v_sub_f16_e64 v85, v146, v149
	v_fmac_f16_e32 v5, 0x38b4, v78
	v_add_f16_e32 v78, v32, v35
	v_sub_f16_e32 v86, v32, v33
	v_sub_f16_e32 v32, v33, v32
	;; [unrolled: 1-line block ×3, first 2 shown]
	v_add_f16_e32 v23, v23, v79
	v_fmac_f16_e32 v74, 0x34f2, v72
	v_fmac_f16_e32 v77, 0x34f2, v72
	v_add_f16_e32 v72, v76, v34
	v_fmamk_f16 v76, v85, 0x3b9c, v84
	v_sub_f16_e64 v79, v148, v79
	v_sub_f16_e32 v87, v35, v34
	v_fmac_f16_e32 v8, -0.5, v78
	v_fmac_f16_e32 v84, 0xbb9c, v85
	v_add_f16_e32 v34, v80, v81
	v_add_f16_e32 v32, v32, v33
	;; [unrolled: 1-line block ×3, first 2 shown]
	v_lshrrev_b32_e32 v9, 16, v2
	v_fmac_f16_e32 v75, 0x34f2, v83
	v_fmac_f16_e32 v5, 0x34f2, v83
	v_add_f16_e32 v72, v72, v35
	v_fmac_f16_e32 v76, 0x38b4, v79
	v_add_f16_e32 v78, v86, v87
	v_fmamk_f16 v83, v79, 0xbb9c, v8
	v_fmac_f16_e32 v84, 0xb8b4, v79
	v_fma_f16 v34, -0.5, v34, v2
	v_sub_f16_e32 v35, v28, v31
	v_fmac_f16_e32 v8, 0x3b9c, v79
	v_add_f16_e32 v33, v33, v80
	v_add_f16_e32 v88, v59, v60
	v_fmac_f16_e32 v76, 0x34f2, v78
	v_fmac_f16_e32 v83, 0x38b4, v85
	;; [unrolled: 1-line block ×3, first 2 shown]
	v_fmamk_f16 v78, v35, 0xbb9c, v34
	v_sub_f16_e32 v79, v29, v30
	v_sub_f16_e32 v86, v59, v80
	;; [unrolled: 1-line block ×3, first 2 shown]
	v_fmac_f16_e32 v8, 0xb8b4, v85
	v_add_f16_e32 v33, v33, v81
	v_fma_f16 v2, -0.5, v88, v2
	v_fmac_f16_e32 v34, 0x3b9c, v35
	v_add_f16_e32 v88, v9, v28
	v_fmac_f16_e32 v83, 0x34f2, v32
	v_fmac_f16_e32 v78, 0xb8b4, v79
	v_add_f16_e32 v85, v86, v87
	v_fmac_f16_e32 v8, 0x34f2, v32
	v_add_f16_e32 v32, v33, v60
	v_fmamk_f16 v33, v79, 0x3b9c, v2
	v_sub_f16_e32 v86, v80, v59
	v_sub_f16_e32 v87, v81, v60
	v_fmac_f16_e32 v34, 0x38b4, v79
	v_add_f16_e32 v89, v29, v30
	v_fmac_f16_e32 v2, 0xbb9c, v79
	v_add_f16_e32 v79, v88, v29
	;; [unrolled: 2-line block ×3, first 2 shown]
	v_fma_f16 v87, -0.5, v89, v9
	v_sub_f16_e32 v59, v59, v60
	v_fmac_f16_e32 v2, 0x38b4, v35
	v_add_f16_e32 v35, v79, v30
	v_add_f16_e32 v79, v28, v31
	v_sub_f16_e32 v80, v80, v81
	v_sub_f16_e32 v81, v28, v29
	;; [unrolled: 1-line block ×4, first 2 shown]
	v_fmac_f16_e32 v78, 0x34f2, v85
	v_fmac_f16_e32 v34, 0x34f2, v85
	v_fmamk_f16 v60, v59, 0x3b9c, v87
	v_sub_f16_e32 v85, v31, v30
	v_fmac_f16_e32 v9, -0.5, v79
	v_fmac_f16_e32 v87, 0xbb9c, v59
	v_add_f16_e32 v30, v63, v71
	v_add_f16_e32 v28, v28, v29
	;; [unrolled: 1-line block ×3, first 2 shown]
	v_lshrrev_b32_e32 v7, 16, v3
	v_add_f16_e32 v35, v35, v31
	v_fmac_f16_e32 v60, 0x38b4, v80
	v_add_f16_e32 v79, v81, v85
	v_fmamk_f16 v81, v80, 0xbb9c, v9
	v_fmac_f16_e32 v87, 0xb8b4, v80
	v_fma_f16 v30, -0.5, v30, v3
	v_sub_f16_e32 v31, v24, v27
	v_fmac_f16_e32 v9, 0x3b9c, v80
	v_add_f16_e32 v29, v29, v63
	v_add_f16_e32 v88, v61, v82
	v_fmac_f16_e32 v33, 0x34f2, v86
	v_fmac_f16_e32 v2, 0x34f2, v86
	;; [unrolled: 1-line block ×5, first 2 shown]
	v_fmamk_f16 v79, v31, 0xbb9c, v30
	v_sub_f16_e32 v80, v25, v26
	v_sub_f16_e32 v85, v61, v63
	v_sub_f16_e32 v86, v82, v71
	v_fmac_f16_e32 v9, 0xb8b4, v59
	v_add_f16_e32 v29, v29, v71
	v_fmac_f16_e32 v3, -0.5, v88
	v_fmac_f16_e32 v30, 0x3b9c, v31
	v_add_f16_e32 v88, v7, v24
	v_fmac_f16_e32 v81, 0x34f2, v28
	v_fmac_f16_e32 v79, 0xb8b4, v80
	v_add_f16_e32 v59, v85, v86
	v_fmac_f16_e32 v9, 0x34f2, v28
	v_add_f16_e32 v28, v29, v82
	v_fmamk_f16 v29, v80, 0x3b9c, v3
	v_sub_f16_e32 v85, v63, v61
	v_sub_f16_e32 v86, v71, v82
	v_fmac_f16_e32 v30, 0x38b4, v80
	v_add_f16_e32 v89, v25, v26
	v_fmac_f16_e32 v3, 0xbb9c, v80
	v_add_f16_e32 v80, v88, v25
	;; [unrolled: 2-line block ×3, first 2 shown]
	v_fma_f16 v86, -0.5, v89, v7
	v_sub_f16_e32 v61, v61, v82
	v_fmac_f16_e32 v3, 0x38b4, v31
	v_add_f16_e32 v31, v80, v26
	v_add_f16_e32 v80, v24, v27
	v_fmac_f16_e32 v79, 0x34f2, v59
	v_fmac_f16_e32 v30, 0x34f2, v59
	v_fmamk_f16 v59, v61, 0x3b9c, v86
	v_sub_f16_e32 v63, v63, v71
	v_sub_f16_e32 v71, v24, v25
	;; [unrolled: 1-line block ×3, first 2 shown]
	v_fmac_f16_e32 v7, -0.5, v80
	v_fmac_f16_e32 v86, 0xbb9c, v61
	v_sub_f16_e32 v24, v25, v24
	v_sub_f16_e32 v25, v26, v27
	v_add_f16_e32 v26, v14, v19
	v_add_f16_e32 v31, v31, v27
	v_fmac_f16_e32 v59, 0x38b4, v63
	v_add_f16_e32 v71, v71, v82
	v_fmamk_f16 v80, v63, 0xbb9c, v7
	v_fmac_f16_e32 v86, 0xb8b4, v63
	v_add_f16_e32 v24, v24, v25
	v_fmac_f16_e32 v7, 0x3b9c, v63
	v_add_f16_e32 v25, v0, v15
	v_fma_f16 v26, -0.5, v26, v0
	v_sub_f16_e32 v27, v11, v20
	v_fmac_f16_e32 v29, 0x34f2, v85
	v_fmac_f16_e32 v3, 0x34f2, v85
	;; [unrolled: 1-line block ×6, first 2 shown]
	v_add_f16_e32 v25, v25, v14
	v_fmamk_f16 v61, v27, 0xbb9c, v26
	v_sub_f16_e32 v63, v12, v16
	v_sub_f16_e32 v71, v15, v14
	;; [unrolled: 1-line block ×3, first 2 shown]
	v_fmac_f16_e32 v26, 0x3b9c, v27
	v_add_f16_e32 v85, v15, v21
	v_lshrrev_b32_e32 v6, 16, v0
	v_add_f16_e32 v25, v25, v19
	v_fmac_f16_e32 v61, 0xb8b4, v63
	v_add_f16_e32 v71, v71, v82
	v_fmac_f16_e32 v26, 0x38b4, v63
	v_fmac_f16_e32 v0, -0.5, v85
	v_sub_f16_e32 v82, v14, v15
	v_sub_f16_e32 v85, v19, v21
	v_fmac_f16_e32 v80, 0x34f2, v24
	v_fmac_f16_e32 v7, 0x34f2, v24
	v_add_f16_e32 v24, v25, v21
	v_fmac_f16_e32 v61, 0x34f2, v71
	v_fmac_f16_e32 v26, 0x34f2, v71
	v_fmamk_f16 v25, v63, 0x3b9c, v0
	v_add_f16_e32 v71, v12, v16
	v_fmac_f16_e32 v0, 0xbb9c, v63
	v_sub_f16_e32 v15, v15, v21
	v_add_f16_e32 v21, v82, v85
	v_add_f16_e32 v82, v11, v20
	;; [unrolled: 1-line block ×3, first 2 shown]
	v_add_f16_e64 v17, v17, v143
	v_fma_f16 v71, -0.5, v71, v6
	v_fmac_f16_e32 v25, 0xb8b4, v27
	v_fmac_f16_e32 v0, 0x38b4, v27
	v_sub_f16_e32 v14, v14, v19
	v_fmac_f16_e32 v6, -0.5, v82
	v_add_f16_e32 v27, v63, v12
	v_add_f16_e64 v17, v17, v145
	v_fmac_f16_e32 v25, 0x34f2, v21
	v_fmac_f16_e32 v0, 0x34f2, v21
	v_sub_f16_e32 v21, v11, v12
	v_fmamk_f16 v82, v14, 0xbb9c, v6
	v_sub_f16_e32 v11, v12, v11
	v_sub_f16_e32 v12, v16, v20
	v_fmac_f16_e32 v6, 0x3b9c, v14
	v_fmamk_f16 v63, v15, 0x3b9c, v71
	v_add_f16_e32 v19, v27, v16
	v_sub_f16_e32 v27, v20, v16
	v_fmac_f16_e32 v71, 0xbb9c, v15
	v_add_f16_e64 v17, v17, v144
	v_fmac_f16_e32 v82, 0x38b4, v15
	v_add_f16_e32 v11, v11, v12
	v_fmac_f16_e32 v6, 0xb8b4, v15
	v_add_f16_e64 v23, v23, v149
	v_fmac_f16_e32 v63, 0x38b4, v14
	v_add_f16_e32 v16, v21, v27
	v_fmac_f16_e32 v71, 0xb8b4, v14
	v_fmac_f16_e32 v82, 0x34f2, v11
	;; [unrolled: 1-line block ×3, first 2 shown]
	v_pack_b32_f16 v11, v17, v22
	v_pack_b32_f16 v13, v13, v62
	;; [unrolled: 1-line block ×6, first 2 shown]
	v_fmac_f16_e32 v63, 0x34f2, v16
	v_fmac_f16_e32 v71, 0x34f2, v16
	v_pack_b32_f16 v15, v74, v76
	v_pack_b32_f16 v16, v75, v83
	ds_store_2addr_b32 v91, v11, v13 offset1:55
	ds_store_2addr_b32 v91, v14, v4 offset0:110 offset1:165
	ds_store_2addr_b32 v70, v1, v10 offset0:92 offset1:147
	ds_store_2addr_b32 v68, v15, v16 offset0:74 offset1:129
	v_pack_b32_f16 v1, v5, v8
	v_pack_b32_f16 v4, v77, v84
	;; [unrolled: 1-line block ×4, first 2 shown]
	v_add_nc_u32_e32 v10, 0x800, v189
	v_add_f16_e32 v12, v19, v20
	v_pack_b32_f16 v11, v33, v81
	v_pack_b32_f16 v2, v2, v9
	v_add_nc_u32_e32 v14, 0xc00, v191
	ds_store_2addr_b32 v68, v1, v4 offset0:184 offset1:239
	ds_store_2addr_b32 v10, v5, v8 offset0:38 offset1:93
	;; [unrolled: 1-line block ×3, first 2 shown]
	v_pack_b32_f16 v2, v29, v80
	v_pack_b32_f16 v3, v3, v7
	;; [unrolled: 1-line block ×6, first 2 shown]
	v_add_nc_u32_e32 v7, 0x1000, v192
	v_pack_b32_f16 v8, v25, v82
	v_pack_b32_f16 v0, v0, v6
	;; [unrolled: 1-line block ×3, first 2 shown]
	ds_store_2addr_b32 v14, v2, v3 offset0:167 offset1:222
	v_pack_b32_f16 v2, v30, v86
	v_pack_b32_f16 v3, v26, v71
	ds_store_2addr_b32 v14, v9, v13 offset0:57 offset1:112
	ds_store_2addr_b32 v7, v4, v5 offset0:76 offset1:131
	;; [unrolled: 1-line block ×3, first 2 shown]
	ds_store_b32 v189, v1 offset:3080
	ds_store_b32 v191, v2 offset:4180
	;; [unrolled: 1-line block ×3, first 2 shown]
	global_wb scope:SCOPE_SE
	s_wait_dscnt 0x0
	s_barrier_signal -1
	s_barrier_wait -1
	global_inv scope:SCOPE_SE
	ds_load_2addr_b32 v[4:5], v91 offset1:55
	ds_load_2addr_b32 v[0:1], v70 offset0:92 offset1:147
	ds_load_2addr_b32 v[11:12], v67 offset0:38 offset1:93
	;; [unrolled: 1-line block ×11, first 2 shown]
	ds_load_b32 v33, v91 offset:5280
	s_wait_dscnt 0xc
	v_lshrrev_b32_e32 v10, 16, v4
	s_wait_dscnt 0xb
	v_lshrrev_b32_e32 v13, 16, v1
	;; [unrolled: 2-line block ×6, first 2 shown]
	v_mul_f16_e64 v75, v201, v13
	v_lshrrev_b32_e32 v35, 16, v12
	v_mul_f16_e64 v80, v200, v30
	v_mul_f16_e64 v81, v200, v11
	;; [unrolled: 1-line block ×3, first 2 shown]
	v_fmac_f16_e32 v75, v48, v1
	v_mul_f16_e64 v1, v201, v1
	v_mul_f16_e64 v83, v199, v15
	s_wait_dscnt 0x6
	v_lshrrev_b32_e32 v59, 16, v20
	v_lshrrev_b32_e32 v60, 16, v17
	v_fmac_f16_e32 v80, v49, v11
	v_fma_f16 v48, v48, v13, -v1
	v_fma_f16 v30, v49, v30, -v81
	v_fmac_f16_e32 v82, v50, v15
	v_fma_f16 v31, v50, v31, -v83
	v_mul_f16_e64 v49, v198, v32
	v_mul_f16_e64 v1, v198, v16
	;; [unrolled: 1-line block ×5, first 2 shown]
	v_lshrrev_b32_e32 v61, 16, v19
	s_wait_dscnt 0x4
	v_lshrrev_b32_e32 v62, 16, v22
	v_fmac_f16_e32 v49, v51, v16
	v_fma_f16 v32, v51, v32, -v1
	v_fmac_f16_e32 v50, v44, v18
	v_fma_f16 v34, v44, v34, -v11
	v_fmac_f16_e32 v81, v45, v12
	v_mul_f16_e64 v1, v196, v12
	v_mul_f16_e64 v44, v195, v59
	;; [unrolled: 1-line block ×5, first 2 shown]
	v_lshrrev_b32_e32 v63, 16, v21
	s_wait_dscnt 0x2
	v_lshrrev_b32_e32 v71, 16, v26
	v_fma_f16 v35, v45, v35, -v1
	v_fmac_f16_e32 v44, v46, v20
	v_fma_f16 v45, v46, v59, -v11
	v_fmac_f16_e32 v51, v47, v17
	v_fma_f16 v46, v47, v60, -v12
	v_mul_f16_e64 v47, v208, v61
	v_mul_f16_e64 v1, v208, v19
	;; [unrolled: 1-line block ×4, first 2 shown]
	v_lshrrev_b32_e32 v72, 16, v23
	v_mul_f16_e64 v60, v209, v63
	v_fmac_f16_e32 v47, v40, v19
	v_fma_f16 v40, v40, v61, -v1
	v_fmac_f16_e32 v59, v41, v22
	v_fma_f16 v22, v41, v62, -v11
	v_mul_f16_e64 v1, v209, v21
	v_mul_f16_e64 v41, v212, v71
	;; [unrolled: 1-line block ×3, first 2 shown]
	v_lshrrev_b32_e32 v64, 16, v24
	v_lshrrev_b32_e32 v74, 16, v25
	v_fmac_f16_e32 v60, v42, v21
	v_fma_f16 v42, v42, v63, -v1
	v_fmac_f16_e32 v41, v36, v26
	v_fma_f16 v26, v36, v71, -v12
	v_mul_f16_e64 v36, v204, v72
	v_mul_f16_e64 v1, v204, v23
	s_wait_dscnt 0x1
	v_lshrrev_b32_e32 v73, 16, v28
	v_lshrrev_b32_e32 v76, 16, v27
	;; [unrolled: 1-line block ×3, first 2 shown]
	v_mul_f16_e64 v21, v211, v64
	v_mul_f16_e64 v11, v211, v24
	;; [unrolled: 1-line block ×3, first 2 shown]
	v_fmac_f16_e32 v36, v37, v23
	v_fma_f16 v23, v37, v72, -v1
	v_mul_f16_e64 v1, v205, v25
	v_lshrrev_b32_e32 v78, 16, v29
	s_wait_dscnt 0x0
	v_lshrrev_b32_e32 v79, 16, v33
	v_fmac_f16_e32 v21, v43, v24
	v_fma_f16 v24, v43, v64, -v11
	v_mul_f16_e64 v43, v213, v73
	v_mul_f16_e64 v11, v213, v28
	v_fmac_f16_e32 v61, v39, v25
	v_mul_f16_e64 v15, v206, v76
	v_mul_f16_e64 v13, v207, v77
	v_fma_f16 v25, v39, v74, -v1
	v_add_f16_e32 v1, v80, v82
	v_fmac_f16_e32 v43, v38, v28
	v_fma_f16 v28, v38, v73, -v11
	v_mul_f16_e64 v11, v206, v27
	v_mul_f16_e64 v12, v207, v14
	v_fmac_f16_e32 v15, v52, v27
	v_fmac_f16_e32 v13, v53, v14
	v_mul_f16_e64 v17, v203, v78
	v_mul_f16_e64 v14, v203, v29
	;; [unrolled: 1-line block ×3, first 2 shown]
	v_add_f16_e32 v18, v4, v75
	v_fma_f16 v1, -0.5, v1, v4
	v_sub_f16_e32 v37, v48, v32
	v_add_f16_e32 v38, v75, v49
	v_fma_f16 v11, v52, v76, -v11
	v_fmac_f16_e32 v17, v54, v29
	v_fma_f16 v16, v54, v78, -v14
	v_fmac_f16_e32 v27, v55, v33
	v_add_f16_e32 v18, v18, v80
	v_fmamk_f16 v14, v37, 0xbb9c, v1
	v_sub_f16_e32 v29, v30, v31
	v_sub_f16_e32 v19, v75, v80
	;; [unrolled: 1-line block ×3, first 2 shown]
	v_mul_f16_e64 v33, v202, v33
	v_fma_f16 v4, -0.5, v38, v4
	v_fmac_f16_e32 v1, 0x3b9c, v37
	v_add_f16_e32 v52, v10, v48
	v_fma_f16 v12, v53, v77, -v12
	v_add_f16_e32 v18, v18, v82
	v_fmac_f16_e32 v14, 0xb8b4, v29
	v_add_f16_e32 v39, v19, v20
	v_fma_f16 v20, v55, v79, -v33
	v_fmamk_f16 v19, v29, 0x3b9c, v4
	v_sub_f16_e32 v33, v80, v75
	v_sub_f16_e32 v38, v82, v49
	v_fmac_f16_e32 v1, 0x38b4, v29
	v_add_f16_e32 v53, v30, v31
	v_fmac_f16_e32 v4, 0xbb9c, v29
	v_add_f16_e32 v29, v52, v30
	v_add_f16_e32 v18, v18, v49
	v_fmac_f16_e32 v14, 0x34f2, v39
	v_add_f16_e32 v33, v33, v38
	v_fma_f16 v38, -0.5, v53, v10
	v_sub_f16_e32 v49, v75, v49
	v_fmac_f16_e32 v1, 0x34f2, v39
	v_add_f16_e32 v29, v29, v31
	v_add_f16_e32 v39, v48, v32
	v_sub_f16_e32 v53, v48, v30
	v_sub_f16_e32 v54, v32, v31
	;; [unrolled: 1-line block ×4, first 2 shown]
	v_fmac_f16_e32 v19, 0xb8b4, v37
	v_fmac_f16_e32 v4, 0x38b4, v37
	v_fmamk_f16 v37, v49, 0x3b9c, v38
	v_sub_f16_e32 v52, v80, v82
	v_fmac_f16_e32 v10, -0.5, v39
	v_add_f16_e32 v29, v29, v32
	v_fmac_f16_e32 v38, 0xbb9c, v49
	v_add_f16_e32 v32, v81, v44
	v_add_f16_e32 v30, v30, v31
	;; [unrolled: 1-line block ×3, first 2 shown]
	v_lshrrev_b32_e32 v8, 16, v5
	v_fmac_f16_e32 v19, 0x34f2, v33
	v_fmac_f16_e32 v4, 0x34f2, v33
	;; [unrolled: 1-line block ×3, first 2 shown]
	v_add_f16_e32 v33, v53, v54
	v_fmamk_f16 v39, v52, 0xbb9c, v10
	v_fmac_f16_e32 v38, 0xb8b4, v52
	v_fma_f16 v32, -0.5, v32, v5
	v_sub_f16_e32 v48, v34, v46
	v_fmac_f16_e32 v10, 0x3b9c, v52
	v_add_f16_e32 v31, v31, v81
	v_add_f16_e32 v55, v50, v51
	v_fmac_f16_e32 v37, 0x34f2, v33
	v_fmac_f16_e32 v39, 0x38b4, v49
	;; [unrolled: 1-line block ×3, first 2 shown]
	v_fmamk_f16 v33, v48, 0xbb9c, v32
	v_sub_f16_e32 v52, v35, v45
	v_sub_f16_e32 v53, v50, v81
	v_sub_f16_e32 v54, v51, v44
	v_fmac_f16_e32 v10, 0xb8b4, v49
	v_add_f16_e32 v31, v31, v44
	v_fmac_f16_e32 v5, -0.5, v55
	v_fmac_f16_e32 v32, 0x3b9c, v48
	v_add_f16_e32 v55, v8, v34
	v_fmac_f16_e32 v39, 0x34f2, v30
	v_fmac_f16_e32 v33, 0xb8b4, v52
	v_add_f16_e32 v49, v53, v54
	v_fmac_f16_e32 v10, 0x34f2, v30
	v_add_f16_e32 v30, v31, v51
	v_fmamk_f16 v31, v52, 0x3b9c, v5
	v_sub_f16_e32 v53, v81, v50
	v_sub_f16_e32 v54, v44, v51
	v_fmac_f16_e32 v32, 0x38b4, v52
	v_add_f16_e32 v62, v35, v45
	v_fmac_f16_e32 v5, 0xbb9c, v52
	v_add_f16_e32 v52, v55, v35
	;; [unrolled: 2-line block ×3, first 2 shown]
	v_fma_f16 v54, -0.5, v62, v8
	v_sub_f16_e32 v50, v50, v51
	v_fmac_f16_e32 v5, 0x38b4, v48
	v_add_f16_e32 v48, v52, v45
	v_add_f16_e32 v51, v34, v46
	v_sub_f16_e32 v52, v34, v35
	v_sub_f16_e32 v34, v35, v34
	;; [unrolled: 1-line block ×3, first 2 shown]
	v_fmac_f16_e32 v33, 0x34f2, v49
	v_fmac_f16_e32 v32, 0x34f2, v49
	v_fmamk_f16 v49, v50, 0x3b9c, v54
	v_sub_f16_e32 v44, v81, v44
	v_sub_f16_e32 v55, v46, v45
	v_fmac_f16_e32 v8, -0.5, v51
	v_fmac_f16_e32 v54, 0xbb9c, v50
	v_add_f16_e32 v45, v59, v60
	v_add_f16_e32 v34, v34, v35
	;; [unrolled: 1-line block ×3, first 2 shown]
	v_lshrrev_b32_e32 v9, 16, v2
	v_add_f16_e32 v48, v48, v46
	v_fmac_f16_e32 v49, 0x38b4, v44
	v_add_f16_e32 v51, v52, v55
	v_fmamk_f16 v52, v44, 0xbb9c, v8
	v_fmac_f16_e32 v54, 0xb8b4, v44
	v_fma_f16 v45, -0.5, v45, v2
	v_sub_f16_e32 v46, v40, v24
	v_fmac_f16_e32 v8, 0x3b9c, v44
	v_add_f16_e32 v35, v35, v59
	v_add_f16_e32 v62, v47, v21
	v_fmac_f16_e32 v31, 0x34f2, v53
	v_fmac_f16_e32 v5, 0x34f2, v53
	;; [unrolled: 1-line block ×5, first 2 shown]
	v_fmamk_f16 v44, v46, 0xbb9c, v45
	v_sub_f16_e32 v51, v22, v42
	v_sub_f16_e32 v53, v47, v59
	;; [unrolled: 1-line block ×3, first 2 shown]
	v_fmac_f16_e32 v8, 0xb8b4, v50
	v_add_f16_e32 v35, v35, v60
	v_fma_f16 v2, -0.5, v62, v2
	v_fmac_f16_e32 v45, 0x3b9c, v46
	v_add_f16_e32 v62, v9, v40
	v_fmac_f16_e32 v52, 0x34f2, v34
	v_fmac_f16_e32 v44, 0xb8b4, v51
	v_add_f16_e32 v50, v53, v55
	v_fmac_f16_e32 v8, 0x34f2, v34
	v_add_f16_e32 v34, v35, v21
	v_fmamk_f16 v35, v51, 0x3b9c, v2
	v_sub_f16_e32 v53, v59, v47
	v_sub_f16_e32 v55, v60, v21
	v_fmac_f16_e32 v45, 0x38b4, v51
	v_add_f16_e32 v63, v22, v42
	v_fmac_f16_e32 v2, 0xbb9c, v51
	v_add_f16_e32 v51, v62, v22
	v_fmac_f16_e32 v44, 0x34f2, v50
	v_fmac_f16_e32 v35, 0xb8b4, v46
	v_add_f16_e32 v53, v53, v55
	v_fma_f16 v55, -0.5, v63, v9
	v_sub_f16_e32 v21, v47, v21
	v_fmac_f16_e32 v45, 0x34f2, v50
	v_fmac_f16_e32 v2, 0x38b4, v46
	v_add_f16_e32 v46, v51, v42
	v_add_f16_e32 v50, v40, v24
	v_fmamk_f16 v47, v21, 0x3b9c, v55
	v_sub_f16_e32 v51, v59, v60
	v_sub_f16_e32 v59, v40, v22
	;; [unrolled: 1-line block ×3, first 2 shown]
	v_fmac_f16_e32 v9, -0.5, v50
	v_add_f16_e32 v46, v46, v24
	v_fmac_f16_e32 v55, 0xbb9c, v21
	v_sub_f16_e32 v22, v22, v40
	v_sub_f16_e32 v24, v42, v24
	v_add_f16_e32 v40, v36, v43
	v_lshrrev_b32_e32 v7, 16, v3
	v_fmac_f16_e32 v35, 0x34f2, v53
	v_fmac_f16_e32 v2, 0x34f2, v53
	;; [unrolled: 1-line block ×3, first 2 shown]
	v_add_f16_e32 v50, v59, v60
	v_fmamk_f16 v53, v51, 0xbb9c, v9
	v_fmac_f16_e32 v55, 0xb8b4, v51
	v_add_f16_e32 v22, v22, v24
	v_add_f16_e32 v24, v3, v41
	v_fma_f16 v40, -0.5, v40, v3
	v_sub_f16_e32 v42, v26, v25
	v_fmac_f16_e32 v9, 0x3b9c, v51
	v_add_f16_e32 v62, v41, v61
	v_fmac_f16_e32 v47, 0x34f2, v50
	v_fmac_f16_e32 v53, 0x38b4, v21
	;; [unrolled: 1-line block ×3, first 2 shown]
	v_add_f16_e32 v24, v24, v36
	v_fmamk_f16 v50, v42, 0xbb9c, v40
	v_sub_f16_e32 v51, v23, v28
	v_sub_f16_e32 v59, v41, v36
	;; [unrolled: 1-line block ×3, first 2 shown]
	v_fmac_f16_e32 v9, 0xb8b4, v21
	v_fmac_f16_e32 v3, -0.5, v62
	v_fmac_f16_e32 v40, 0x3b9c, v42
	v_add_f16_e32 v62, v7, v26
	v_fmac_f16_e32 v53, 0x34f2, v22
	v_add_f16_e32 v21, v24, v43
	;; [unrolled: 2-line block ×3, first 2 shown]
	v_fmac_f16_e32 v9, 0x34f2, v22
	v_fmamk_f16 v22, v51, 0x3b9c, v3
	v_sub_f16_e32 v59, v36, v41
	v_sub_f16_e32 v60, v43, v61
	v_fmac_f16_e32 v40, 0x38b4, v51
	v_add_f16_e32 v63, v23, v28
	v_fmac_f16_e32 v3, 0xbb9c, v51
	v_add_f16_e32 v51, v62, v23
	;; [unrolled: 2-line block ×3, first 2 shown]
	v_fma_f16 v60, -0.5, v63, v7
	v_sub_f16_e32 v41, v41, v61
	v_fmac_f16_e32 v40, 0x34f2, v24
	v_add_f16_e32 v24, v51, v28
	v_add_f16_e32 v51, v26, v25
	;; [unrolled: 1-line block ×3, first 2 shown]
	v_fmac_f16_e32 v22, 0xb8b4, v42
	v_fmac_f16_e32 v3, 0x38b4, v42
	v_fmamk_f16 v42, v41, 0x3b9c, v60
	v_sub_f16_e32 v36, v36, v43
	v_sub_f16_e32 v43, v26, v23
	;; [unrolled: 1-line block ×3, first 2 shown]
	v_fmac_f16_e32 v7, -0.5, v51
	v_add_f16_e32 v24, v24, v25
	v_fmac_f16_e32 v60, 0xbb9c, v41
	v_sub_f16_e32 v23, v23, v26
	v_sub_f16_e32 v25, v28, v25
	v_add_f16_e32 v26, v13, v17
	v_fmac_f16_e32 v42, 0x38b4, v36
	v_add_f16_e32 v43, v43, v61
	v_fmamk_f16 v51, v36, 0xbb9c, v7
	v_fmac_f16_e32 v60, 0xb8b4, v36
	v_add_f16_e32 v23, v23, v25
	v_fmac_f16_e32 v7, 0x3b9c, v36
	v_add_f16_e32 v25, v0, v15
	v_fma_f16 v26, -0.5, v26, v0
	v_sub_f16_e32 v28, v11, v20
	v_fmac_f16_e32 v22, 0x34f2, v59
	v_fmac_f16_e32 v3, 0x34f2, v59
	;; [unrolled: 1-line block ×6, first 2 shown]
	v_add_f16_e32 v25, v25, v13
	v_fmamk_f16 v36, v28, 0xbb9c, v26
	v_sub_f16_e32 v41, v12, v16
	v_sub_f16_e32 v43, v15, v13
	;; [unrolled: 1-line block ×3, first 2 shown]
	v_fmac_f16_e32 v26, 0x3b9c, v28
	v_add_f16_e32 v61, v15, v27
	v_lshrrev_b32_e32 v6, 16, v0
	v_add_f16_e32 v25, v25, v17
	v_fmac_f16_e32 v36, 0xb8b4, v41
	v_add_f16_e32 v43, v43, v59
	v_fmac_f16_e32 v26, 0x38b4, v41
	v_fmac_f16_e32 v0, -0.5, v61
	v_sub_f16_e32 v59, v13, v15
	v_sub_f16_e32 v61, v17, v27
	v_fmac_f16_e32 v51, 0x34f2, v23
	v_fmac_f16_e32 v7, 0x34f2, v23
	v_add_f16_e32 v23, v25, v27
	v_fmac_f16_e32 v36, 0x34f2, v43
	v_fmac_f16_e32 v26, 0x34f2, v43
	v_fmamk_f16 v25, v41, 0x3b9c, v0
	v_add_f16_e32 v43, v12, v16
	v_fmac_f16_e32 v0, 0xbb9c, v41
	v_sub_f16_e32 v15, v15, v27
	v_add_f16_e32 v27, v59, v61
	v_add_f16_e32 v59, v11, v20
	;; [unrolled: 1-line block ×3, first 2 shown]
	v_fma_f16 v43, -0.5, v43, v6
	v_fmac_f16_e32 v25, 0xb8b4, v28
	v_fmac_f16_e32 v0, 0x38b4, v28
	v_sub_f16_e32 v13, v13, v17
	v_fmac_f16_e32 v6, -0.5, v59
	v_add_f16_e32 v28, v41, v12
	v_fmac_f16_e32 v25, 0x34f2, v27
	v_fmac_f16_e32 v0, 0x34f2, v27
	v_sub_f16_e32 v27, v11, v12
	v_fmamk_f16 v59, v13, 0xbb9c, v6
	v_sub_f16_e32 v11, v12, v11
	v_sub_f16_e32 v12, v16, v20
	v_fmac_f16_e32 v6, 0x3b9c, v13
	v_fmamk_f16 v41, v15, 0x3b9c, v43
	v_add_f16_e32 v17, v28, v16
	v_sub_f16_e32 v28, v20, v16
	v_fmac_f16_e32 v43, 0xbb9c, v15
	v_fmac_f16_e32 v59, 0x38b4, v15
	v_add_f16_e32 v11, v11, v12
	v_fmac_f16_e32 v6, 0xb8b4, v15
	v_fmac_f16_e32 v41, 0x38b4, v13
	v_add_f16_e32 v16, v27, v28
	v_fmac_f16_e32 v43, 0xb8b4, v13
	v_pack_b32_f16 v13, v14, v37
	v_pack_b32_f16 v14, v19, v39
	;; [unrolled: 1-line block ×4, first 2 shown]
	v_add_f16_e32 v12, v17, v20
	v_fmac_f16_e32 v59, 0x34f2, v11
	v_fmac_f16_e32 v6, 0x34f2, v11
	v_pack_b32_f16 v11, v18, v29
	v_pack_b32_f16 v10, v30, v48
	v_fmac_f16_e32 v41, 0x34f2, v16
	ds_store_b32 v91, v13 offset:1100
	ds_store_b32 v91, v14 offset:2200
	;; [unrolled: 1-line block ×4, first 2 shown]
	ds_store_2addr_b32 v91, v11, v10 offset1:55
	v_pack_b32_f16 v1, v33, v49
	v_pack_b32_f16 v11, v44, v47
	;; [unrolled: 1-line block ×6, first 2 shown]
	v_fmac_f16_e32 v43, 0x34f2, v16
	v_pack_b32_f16 v8, v32, v54
	v_pack_b32_f16 v9, v45, v55
	;; [unrolled: 1-line block ×6, first 2 shown]
	ds_store_2addr_b32 v68, v1, v11 offset0:74 offset1:129
	ds_store_2addr_b32 v67, v4, v13 offset0:93 offset1:148
	;; [unrolled: 1-line block ×5, first 2 shown]
	v_pack_b32_f16 v2, v50, v42
	v_pack_b32_f16 v8, v36, v41
	;; [unrolled: 1-line block ×4, first 2 shown]
	v_add_nc_u32_e32 v1, 0xa00, v91
	v_pack_b32_f16 v0, v0, v6
	v_pack_b32_f16 v5, v40, v60
	;; [unrolled: 1-line block ×3, first 2 shown]
	v_add_nc_u32_e32 v13, 0x1200, v91
	ds_store_b32 v91, v7 offset:880
	ds_store_2addr_b32 v68, v2, v8 offset0:184 offset1:239
	ds_store_2addr_b32 v1, v4, v9 offset0:75 offset1:130
	;; [unrolled: 1-line block ×4, first 2 shown]
	global_wb scope:SCOPE_SE
	s_wait_dscnt 0x0
	s_barrier_signal -1
	s_barrier_wait -1
	global_inv scope:SCOPE_SE
	ds_load_2addr_b32 v[14:15], v91 offset1:55
	ds_load_2addr_b32 v[11:12], v91 offset0:125 offset1:180
	s_wait_dscnt 0x1
	v_lshrrev_b32_e32 v0, 16, v14
	v_mul_f16_e64 v4, v137, v14
	s_delay_alu instid0(VALU_DEP_2) | instskip(NEXT) | instid1(VALU_DEP_2)
	v_mul_f16_e64 v2, v137, v0
	v_fma_f16 v0, v132, v0, -v4
	s_delay_alu instid0(VALU_DEP_2) | instskip(NEXT) | instid1(VALU_DEP_2)
	v_fmac_f16_e64 v2, v132, v14
	v_cvt_f32_f16_e32 v0, v0
	s_delay_alu instid0(VALU_DEP_2) | instskip(NEXT) | instid1(VALU_DEP_2)
	v_cvt_f32_f16_e32 v2, v2
	v_cvt_f64_f32_e32 v[4:5], v0
	s_delay_alu instid0(VALU_DEP_2) | instskip(SKIP_1) | instid1(VALU_DEP_2)
	v_cvt_f64_f32_e32 v[2:3], v2
	s_wait_alu 0xfffe
	v_mul_f64_e32 v[4:5], s[8:9], v[4:5]
	s_delay_alu instid0(VALU_DEP_2) | instskip(NEXT) | instid1(VALU_DEP_2)
	v_mul_f64_e32 v[2:3], s[8:9], v[2:3]
	v_and_or_b32 v4, 0x1ff, v5, v4
	v_lshrrev_b32_e32 v16, 8, v5
	v_bfe_u32 v18, v5, 20, 11
	s_delay_alu instid0(VALU_DEP_4)
	v_and_or_b32 v0, 0x1ff, v3, v2
	v_lshrrev_b32_e32 v6, 8, v3
	v_bfe_u32 v8, v3, 20, 11
	s_wait_dscnt 0x0
	v_lshrrev_b32_e32 v2, 16, v11
	v_add_nc_u32_e32 v22, 0xfffffc10, v18
	v_cmp_ne_u32_e64 s0, 0, v0
	v_add_nc_u32_e32 v19, 0xfffffc10, v8
	s_delay_alu instid0(VALU_DEP_4) | instskip(SKIP_1) | instid1(VALU_DEP_3)
	v_mul_f16_e64 v7, v136, v2
	s_wait_alu 0xf1ff
	v_cndmask_b32_e64 v0, 0, 1, s0
	v_cmp_ne_u32_e64 s0, 0, v4
	s_delay_alu instid0(VALU_DEP_3) | instskip(SKIP_1) | instid1(VALU_DEP_4)
	v_fmac_f16_e64 v7, v134, v11
	v_mul_f16_e64 v11, v136, v11
	v_and_or_b32 v0, 0xffe, v6, v0
	v_sub_nc_u32_e32 v6, 0x3f1, v8
	s_wait_alu 0xf1ff
	v_cndmask_b32_e64 v4, 0, 1, s0
	v_sub_nc_u32_e32 v8, 0x3f1, v18
	v_fma_f16 v2, v134, v2, -v11
	v_or_b32_e32 v9, 0x1000, v0
	v_med3_i32 v10, v6, 0, 13
	v_cvt_f32_f16_e32 v6, v7
	v_and_or_b32 v4, 0xffe, v16, v4
	v_cvt_f32_f16_e32 v2, v2
	v_mad_co_u64_u32 v[16:17], null, s6, v58, 0
	v_lshrrev_b32_e32 v14, v10, v9
	v_cvt_f64_f32_e32 v[6:7], v6
	v_or_b32_e32 v11, 0x1000, v4
	v_lshl_or_b32 v18, v22, 12, v4
	s_delay_alu instid0(VALU_DEP_4) | instskip(NEXT) | instid1(VALU_DEP_1)
	v_lshlrev_b32_e32 v10, v10, v14
	v_cmp_ne_u32_e64 s0, v10, v9
	v_lshl_or_b32 v10, v19, 12, v0
	s_wait_alu 0xf1ff
	s_delay_alu instid0(VALU_DEP_2) | instskip(SKIP_1) | instid1(VALU_DEP_2)
	v_cndmask_b32_e64 v9, 0, 1, s0
	v_cmp_gt_i32_e64 s0, 1, v19
	v_or_b32_e32 v9, v14, v9
	v_med3_i32 v14, v8, 0, 13
	s_wait_alu 0xf1ff
	s_delay_alu instid0(VALU_DEP_2) | instskip(NEXT) | instid1(VALU_DEP_2)
	v_cndmask_b32_e64 v20, v10, v9, s0
	v_lshrrev_b32_e32 v21, v14, v11
	v_cvt_f64_f32_e32 v[8:9], v2
	s_delay_alu instid0(VALU_DEP_3) | instskip(NEXT) | instid1(VALU_DEP_3)
	v_and_b32_e32 v2, 7, v20
	v_lshlrev_b32_e32 v10, v14, v21
	s_delay_alu instid0(VALU_DEP_2) | instskip(NEXT) | instid1(VALU_DEP_2)
	v_cmp_lt_i32_e64 s0, 5, v2
	v_cmp_ne_u32_e64 s1, v10, v11
	ds_load_2addr_b32 v[10:11], v70 offset0:122 offset1:177
	v_mul_f64_e32 v[6:7], s[8:9], v[6:7]
	s_wait_alu 0xf1ff
	v_cndmask_b32_e64 v14, 0, 1, s1
	v_cmp_eq_u32_e64 s1, 3, v2
	v_lshrrev_b32_e32 v2, 2, v20
	s_delay_alu instid0(VALU_DEP_3) | instskip(NEXT) | instid1(VALU_DEP_3)
	v_or_b32_e32 v14, v21, v14
	s_or_b32 s0, s1, s0
	s_wait_alu 0xfffe
	s_delay_alu instid0(VALU_DEP_2) | instskip(SKIP_3) | instid1(VALU_DEP_2)
	v_add_co_ci_u32_e64 v2, s0, 0, v2, s0
	v_cmp_ne_u32_e64 s0, 0, v0
	v_mov_b32_e32 v0, v17
	s_wait_alu 0xf1ff
	v_cndmask_b32_e64 v20, 0, 1, s0
	v_cmp_gt_i32_e64 s0, 1, v22
	s_wait_dscnt 0x0
	v_lshrrev_b32_e32 v24, 16, v10
	s_delay_alu instid0(VALU_DEP_3)
	v_lshl_or_b32 v20, v20, 9, 0x7c00
	s_wait_alu 0xf1ff
	v_cndmask_b32_e64 v14, v18, v14, s0
	v_cmp_gt_i32_e64 s0, 31, v19
	v_mad_co_u64_u32 v[17:18], null, s7, v58, v[0:1]
	v_mul_f64_e32 v[8:9], s[8:9], v[8:9]
	s_delay_alu instid0(VALU_DEP_4)
	v_and_b32_e32 v21, 7, v14
	s_wait_alu 0xf1ff
	v_cndmask_b32_e64 v2, 0x7c00, v2, s0
	v_cmp_eq_u32_e64 s0, 0x40f, v19
	v_lshrrev_b32_e32 v0, 2, v14
	v_lshrrev_b32_e32 v14, 16, v3
	v_cmp_eq_u32_e64 s1, 3, v21
	v_mad_co_u64_u32 v[18:19], null, s4, v128, 0
	s_wait_alu 0xf1ff
	v_cndmask_b32_e64 v23, v2, v20, s0
	v_cmp_lt_i32_e64 s0, 5, v21
	v_mul_f16_e64 v2, v135, v24
	v_lshrrev_b32_e32 v21, 8, v7
	v_bfe_u32 v25, v7, 20, 11
	s_delay_alu instid0(VALU_DEP_4) | instskip(NEXT) | instid1(VALU_DEP_3)
	s_or_b32 s0, s1, s0
	v_fmac_f16_e64 v2, v131, v10
	s_wait_alu 0xfffe
	v_add_co_ci_u32_e64 v0, s0, 0, v0, s0
	v_cmp_ne_u32_e64 s0, 0, v4
	v_and_or_b32 v4, 0x1ff, v7, v6
	v_cvt_f32_f16_e32 v2, v2
	v_mul_f16_e64 v10, v135, v10
	v_lshrrev_b32_e32 v7, 16, v7
	s_wait_alu 0xf1ff
	v_cndmask_b32_e64 v3, 0, 1, s0
	v_cmp_gt_i32_e64 s0, 31, v22
	v_fma_f16 v10, v131, v24, -v10
	s_delay_alu instid0(VALU_DEP_3)
	v_lshl_or_b32 v20, v3, 9, 0x7c00
	v_cvt_f64_f32_e32 v[2:3], v2
	s_wait_alu 0xf1ff
	v_cndmask_b32_e64 v6, 0x7c00, v0, s0
	v_mov_b32_e32 v0, v19
	v_cmp_ne_u32_e64 s0, 0, v4
	v_cvt_f32_f16_e32 v10, v10
	s_wait_alu 0xf1ff
	s_delay_alu instid0(VALU_DEP_2) | instskip(SKIP_3) | instid1(VALU_DEP_4)
	v_cndmask_b32_e64 v4, 0, 1, s0
	v_cmp_eq_u32_e64 s0, 0x40f, v22
	v_and_or_b32 v8, 0x1ff, v9, v8
	v_bfe_u32 v24, v9, 20, 11
	v_and_or_b32 v26, 0xffe, v21, v4
	v_sub_nc_u32_e32 v4, 0x3f1, v25
	s_wait_alu 0xf1ff
	v_cndmask_b32_e64 v6, v6, v20, s0
	v_mad_co_u64_u32 v[19:20], null, s5, v128, v[0:1]
	v_lshrrev_b32_e32 v0, 16, v5
	v_and_or_b32 v5, 0x8000, v14, v23
	v_or_b32_e32 v14, 0x1000, v26
	v_med3_i32 v20, v4, 0, 13
	v_cmp_ne_u32_e64 s0, 0, v8
	v_and_or_b32 v0, 0x8000, v0, v6
	v_and_b32_e32 v4, 0xffff, v5
	v_add_nc_u32_e32 v25, 0xfffffc10, v25
	v_lshrrev_b32_e32 v6, v20, v14
	s_wait_alu 0xf1ff
	v_cndmask_b32_e64 v8, 0, 1, s0
	v_lshlrev_b64_e32 v[18:19], 2, v[18:19]
	v_lshl_or_b32 v0, v0, 16, v4
	v_lshlrev_b64_e32 v[4:5], 2, v[16:17]
	v_lshlrev_b32_e32 v16, v20, v6
	v_cvt_f64_f32_e32 v[20:21], v10
	v_lshrrev_b32_e32 v17, 8, v9
	v_sub_nc_u32_e32 v10, 0x3f1, v24
	s_delay_alu instid0(VALU_DEP_4) | instskip(SKIP_1) | instid1(VALU_DEP_4)
	v_cmp_ne_u32_e64 s0, v16, v14
	v_mul_f64_e32 v[22:23], s[8:9], v[2:3]
	v_and_or_b32 v8, 0xffe, v17, v8
	ds_load_2addr_b32 v[2:3], v68 offset0:119 offset1:174
	s_wait_alu 0xf1ff
	v_cndmask_b32_e64 v14, 0, 1, s0
	v_cmp_gt_i32_e64 s0, 1, v25
	v_med3_i32 v10, v10, 0, 13
	v_or_b32_e32 v27, 0x1000, v8
	s_delay_alu instid0(VALU_DEP_4) | instskip(SKIP_2) | instid1(VALU_DEP_1)
	v_or_b32_e32 v6, v6, v14
	v_lshl_or_b32 v14, v25, 12, v26
	s_wait_alu 0xf1ff
	v_cndmask_b32_e64 v6, v14, v6, s0
	v_add_co_u32 v16, s0, s10, v4
	v_lshrrev_b32_e32 v14, v10, v27
	s_wait_alu 0xf1ff
	v_add_co_ci_u32_e64 v17, s0, s11, v5, s0
	v_and_b32_e32 v4, 7, v6
	v_add_co_u32 v18, s0, v16, v18
	v_lshlrev_b32_e32 v5, v10, v14
	s_wait_alu 0xf1ff
	v_add_co_ci_u32_e64 v19, s0, v17, v19, s0
	v_cmp_lt_i32_e64 s0, 5, v4
	v_cmp_eq_u32_e64 s1, 3, v4
	v_lshrrev_b32_e32 v4, 2, v6
	v_cmp_ne_u32_e64 s2, v5, v27
	s_wait_dscnt 0x0
	v_lshrrev_b32_e32 v6, 16, v2
	v_add_nc_u32_e32 v10, 0xfffffc10, v24
	s_or_b32 s0, s1, s0
	global_store_b32 v[18:19], v0, off
	s_wait_alu 0xfffe
	v_add_co_ci_u32_e64 v4, s0, 0, v4, s0
	v_cndmask_b32_e64 v5, 0, 1, s2
	v_cmp_gt_i32_e64 s0, 31, v25
	v_mul_f16_e64 v24, v133, v6
	v_lshl_or_b32 v27, v10, 12, v8
	v_bfe_u32 v29, v23, 20, 11
	v_or_b32_e32 v14, v14, v5
	s_wait_alu 0xf1ff
	v_cndmask_b32_e64 v28, 0x7c00, v4, s0
	v_cmp_gt_i32_e64 s0, 1, v10
	v_mul_f64_e32 v[4:5], s[8:9], v[20:21]
	v_fmac_f16_e64 v24, v129, v2
	v_and_or_b32 v20, 0x1ff, v23, v22
	v_cmp_eq_u32_e64 s2, 0x40f, v25
	s_wait_alu 0xf1ff
	v_cndmask_b32_e64 v14, v27, v14, s0
	v_cmp_ne_u32_e64 s0, 0, v26
	v_cvt_f32_f16_e32 v21, v24
	v_lshrrev_b32_e32 v27, 8, v23
	v_mul_f16_e64 v2, v133, v2
	v_and_b32_e32 v24, 7, v14
	s_wait_alu 0xf1ff
	v_cndmask_b32_e64 v22, 0, 1, s0
	v_cmp_ne_u32_e64 s0, 0, v20
	v_cvt_f64_f32_e32 v[20:21], v21
	v_lshrrev_b32_e32 v14, 2, v14
	v_cmp_eq_u32_e64 s1, 3, v24
	v_lshl_or_b32 v22, v22, 9, 0x7c00
	s_wait_alu 0xf1ff
	v_cndmask_b32_e64 v26, 0, 1, s0
	v_cmp_lt_i32_e64 s0, 5, v24
	v_fma_f16 v2, v129, v6, -v2
	v_lshrrev_b32_e32 v6, 16, v9
	v_cndmask_b32_e64 v22, v28, v22, s2
	v_and_or_b32 v24, 0xffe, v27, v26
	v_sub_nc_u32_e32 v26, 0x3f1, v29
	s_or_b32 s0, s1, s0
	v_cvt_f32_f16_e32 v2, v2
	s_wait_alu 0xfffe
	v_add_co_ci_u32_e64 v14, s0, 0, v14, s0
	v_or_b32_e32 v25, 0x1000, v24
	v_med3_i32 v26, v26, 0, 13
	v_cmp_ne_u32_e64 s0, 0, v8
	v_and_or_b32 v7, 0x8000, v7, v22
	v_lshrrev_b32_e32 v23, 16, v23
	s_delay_alu instid0(VALU_DEP_4)
	v_lshrrev_b32_e32 v27, v26, v25
	s_wait_alu 0xf1ff
	v_cndmask_b32_e64 v8, 0, 1, s0
	v_cmp_gt_i32_e64 s0, 31, v10
	v_and_b32_e32 v28, 0xffff, v7
	v_lshlrev_b32_e32 v22, v26, v27
	s_delay_alu instid0(VALU_DEP_4)
	v_lshl_or_b32 v8, v8, 9, 0x7c00
	s_wait_alu 0xf1ff
	v_cndmask_b32_e64 v14, 0x7c00, v14, s0
	v_cmp_eq_u32_e64 s0, 0x40f, v10
	v_and_or_b32 v4, 0x1ff, v5, v4
	s_wait_alu 0xf1ff
	s_delay_alu instid0(VALU_DEP_2)
	v_cndmask_b32_e64 v8, v14, v8, s0
	v_cmp_ne_u32_e64 s0, v22, v25
	v_lshrrev_b32_e32 v22, 8, v5
	v_bfe_u32 v25, v5, 20, 11
	v_mul_f64_e32 v[9:10], s[8:9], v[20:21]
	v_cvt_f64_f32_e32 v[20:21], v2
	s_wait_alu 0xf1ff
	v_cndmask_b32_e64 v14, 0, 1, s0
	v_cmp_ne_u32_e64 s0, 0, v4
	v_add_nc_u32_e32 v2, 0xfffffc10, v29
	v_and_or_b32 v6, 0x8000, v6, v8
	s_delay_alu instid0(VALU_DEP_4)
	v_or_b32_e32 v8, v27, v14
	s_wait_alu 0xf1ff
	v_cndmask_b32_e64 v4, 0, 1, s0
	v_lshl_or_b32 v14, v2, 12, v24
	v_cmp_gt_i32_e64 s0, 1, v2
	v_add_nc_u32_e32 v27, 0x600, v91
	v_lshl_or_b32 v30, v6, 16, v28
	v_and_or_b32 v4, 0xffe, v22, v4
	v_sub_nc_u32_e32 v22, 0x3f1, v25
	s_wait_alu 0xf1ff
	v_cndmask_b32_e64 v14, v14, v8, s0
	ds_load_2addr_b32 v[7:8], v27 offset0:116 offset1:171
	s_mul_u64 s[0:1], s[4:5], 0x7d
	v_or_b32_e32 v26, 0x1000, v4
	v_med3_i32 v22, v22, 0, 13
	v_and_b32_e32 v0, 7, v14
	s_wait_alu 0xfffe
	s_lshl_b64 s[6:7], s[0:1], 2
	s_delay_alu instid0(VALU_DEP_2) | instskip(NEXT) | instid1(VALU_DEP_2)
	v_lshrrev_b32_e32 v29, v22, v26
	v_cmp_lt_i32_e64 s0, 5, v0
	v_cmp_eq_u32_e64 s1, 3, v0
	v_lshrrev_b32_e32 v0, 2, v14
	v_add_nc_u32_e32 v14, 0xfffffc10, v25
	v_lshlrev_b32_e32 v6, v22, v29
	s_delay_alu instid0(VALU_DEP_4) | instskip(SKIP_2) | instid1(VALU_DEP_2)
	s_or_b32 s0, s1, s0
	s_wait_alu 0xfffe
	v_add_co_ci_u32_e64 v0, s0, 0, v0, s0
	v_cmp_ne_u32_e64 s2, v6, v26
	v_cmp_ne_u32_e64 s0, 0, v24
	v_lshl_or_b32 v22, v14, 12, v4
	s_wait_dscnt 0x0
	v_lshrrev_b32_e32 v26, 16, v7
	v_and_or_b32 v9, 0x1ff, v10, v9
	s_wait_alu 0xf1ff
	v_cndmask_b32_e64 v6, 0, 1, s2
	v_cndmask_b32_e64 v24, 0, 1, s0
	v_cmp_gt_i32_e64 s0, 1, v14
	v_mul_f64_e32 v[20:21], s[8:9], v[20:21]
	v_lshrrev_b32_e32 v25, 8, v10
	v_or_b32_e32 v6, v29, v6
	v_lshl_or_b32 v27, v24, 9, 0x7c00
	v_bfe_u32 v28, v10, 20, 11
	v_cmp_eq_u32_e64 s2, 0x40f, v2
	v_lshrrev_b32_e32 v10, 16, v10
	s_wait_alu 0xf1ff
	v_cndmask_b32_e64 v6, v22, v6, s0
	v_mul_f16_e64 v22, v130, v26
	v_cmp_gt_i32_e64 s0, 31, v2
	v_sub_nc_u32_e32 v29, 0x3f1, v28
	s_delay_alu instid0(VALU_DEP_4) | instskip(NEXT) | instid1(VALU_DEP_4)
	v_and_b32_e32 v24, 7, v6
	v_fmac_f16_e32 v22, v124, v7
	s_wait_alu 0xf1ff
	v_cndmask_b32_e64 v0, 0x7c00, v0, s0
	v_cmp_ne_u32_e64 s0, 0, v9
	v_lshrrev_b32_e32 v2, 2, v6
	v_cmp_eq_u32_e64 s1, 3, v24
	v_cvt_f32_f16_e32 v22, v22
	v_cndmask_b32_e64 v0, v0, v27, s2
	s_wait_alu 0xf1ff
	v_cndmask_b32_e64 v9, 0, 1, s0
	v_cmp_lt_i32_e64 s0, 5, v24
	v_mul_f16_e64 v7, v130, v7
	v_and_or_b32 v0, 0x8000, v23, v0
	s_delay_alu instid0(VALU_DEP_4)
	v_and_or_b32 v9, 0xffe, v25, v9
	v_cvt_f64_f32_e32 v[24:25], v22
	s_or_b32 s0, s1, s0
	v_med3_i32 v22, v29, 0, 13
	s_wait_alu 0xfffe
	v_add_co_ci_u32_e64 v2, s0, 0, v2, s0
	v_or_b32_e32 v6, 0x1000, v9
	v_cmp_ne_u32_e64 s0, 0, v4
	v_and_b32_e32 v0, 0xffff, v0
	s_delay_alu instid0(VALU_DEP_3) | instskip(SKIP_1) | instid1(VALU_DEP_3)
	v_lshrrev_b32_e32 v27, v22, v6
	s_wait_alu 0xf1ff
	v_cndmask_b32_e64 v4, 0, 1, s0
	v_cmp_gt_i32_e64 s0, 31, v14
	v_lshrrev_b32_e32 v23, 8, v21
	v_lshlrev_b32_e32 v22, v22, v27
	s_delay_alu instid0(VALU_DEP_4) | instskip(SKIP_4) | instid1(VALU_DEP_1)
	v_lshl_or_b32 v4, v4, 9, 0x7c00
	s_wait_alu 0xf1ff
	v_cndmask_b32_e64 v2, 0x7c00, v2, s0
	v_cmp_eq_u32_e64 s0, 0x40f, v14
	s_wait_alu 0xf1ff
	v_cndmask_b32_e64 v2, v2, v4, s0
	v_lshrrev_b32_e32 v4, 16, v5
	v_fma_f16 v5, v124, v26, -v7
	v_and_or_b32 v7, 0x1ff, v21, v20
	v_cmp_ne_u32_e64 s0, v22, v6
	v_add_nc_u32_e32 v20, 0xfffffc10, v28
	v_bfe_u32 v26, v21, 20, 11
	v_cvt_f32_f16_e32 v5, v5
	v_and_or_b32 v2, 0x8000, v4, v2
	s_wait_alu 0xf1ff
	v_cndmask_b32_e64 v14, 0, 1, s0
	v_cmp_ne_u32_e64 s0, 0, v7
	v_sub_nc_u32_e32 v29, 0x3f1, v26
	v_cvt_f64_f32_e32 v[6:7], v5
	ds_load_2addr_b32 v[4:5], v67 offset0:113 offset1:168
	v_or_b32_e32 v14, v27, v14
	s_wait_alu 0xf1ff
	v_cndmask_b32_e64 v22, 0, 1, s0
	v_lshl_or_b32 v27, v20, 12, v9
	v_cmp_gt_i32_e64 s0, 1, v20
	v_med3_i32 v29, v29, 0, 13
	v_lshl_or_b32 v0, v2, 16, v0
	v_and_or_b32 v28, 0xffe, v23, v22
	v_mul_f64_e32 v[22:23], s[8:9], v[24:25]
	s_wait_alu 0xf1ff
	v_cndmask_b32_e64 v14, v27, v14, s0
	v_add_co_u32 v18, s0, v18, s6
	v_or_b32_e32 v27, 0x1000, v28
	s_wait_alu 0xf1ff
	v_add_co_ci_u32_e64 v19, s0, s7, v19, s0
	v_and_b32_e32 v2, 7, v14
	v_add_co_u32 v24, s0, v18, s6
	v_lshrrev_b32_e32 v31, v29, v27
	s_wait_alu 0xf1ff
	v_add_co_ci_u32_e64 v25, s0, s7, v19, s0
	v_cmp_lt_i32_e64 s0, 5, v2
	v_cmp_eq_u32_e64 s1, 3, v2
	v_lshlrev_b32_e32 v29, v29, v31
	v_lshrrev_b32_e32 v14, 2, v14
	s_wait_dscnt 0x0
	v_lshrrev_b32_e32 v2, 16, v4
	v_lshrrev_b32_e32 v21, 16, v21
	s_or_b32 s0, s1, s0
	v_cmp_ne_u32_e64 s2, v29, v27
	s_wait_alu 0xfffe
	v_add_co_ci_u32_e64 v14, s0, 0, v14, s0
	v_add_nc_u32_e32 v29, 0xfffffc10, v26
	v_cmp_ne_u32_e64 s0, 0, v9
	s_wait_alu 0xf1ff
	v_cndmask_b32_e64 v27, 0, 1, s2
	v_mul_f16_e32 v26, v127, v2
	s_delay_alu instid0(VALU_DEP_3) | instskip(NEXT) | instid1(VALU_DEP_3)
	v_cndmask_b32_e64 v9, 0, 1, s0
	v_or_b32_e32 v27, v31, v27
	v_lshl_or_b32 v31, v29, 12, v28
	v_cmp_gt_i32_e64 s0, 1, v29
	v_mul_f64_e32 v[6:7], s[8:9], v[6:7]
	v_fmac_f16_e32 v26, v126, v4
	v_lshl_or_b32 v9, v9, 9, 0x7c00
	v_mul_f16_e32 v4, v127, v4
	s_wait_alu 0xf1ff
	v_cndmask_b32_e64 v31, v31, v27, s0
	v_and_or_b32 v22, 0x1ff, v23, v22
	v_cmp_gt_i32_e64 s0, 31, v20
	v_cvt_f32_f16_e32 v26, v26
	v_lshrrev_b32_e32 v33, 8, v23
	v_and_b32_e32 v32, 7, v31
	v_bfe_u32 v34, v23, 20, 11
	s_wait_alu 0xf1ff
	v_cndmask_b32_e64 v14, 0x7c00, v14, s0
	v_cmp_ne_u32_e64 s0, 0, v22
	v_cvt_f64_f32_e32 v[26:27], v26
	v_cmp_eq_u32_e64 s1, 3, v32
	v_fma_f16 v2, v126, v2, -v4
	v_lshrrev_b32_e32 v23, 16, v23
	s_wait_alu 0xf1ff
	v_cndmask_b32_e64 v22, 0, 1, s0
	v_cmp_eq_u32_e64 s0, 0x40f, v20
	v_sub_nc_u32_e32 v20, 0x3f1, v34
	v_cvt_f32_f16_e32 v2, v2
	s_wait_alu 0xf1ff
	s_delay_alu instid0(VALU_DEP_3) | instskip(SKIP_4) | instid1(VALU_DEP_4)
	v_cndmask_b32_e64 v9, v14, v9, s0
	v_cmp_lt_i32_e64 s0, 5, v32
	v_and_or_b32 v14, 0xffe, v33, v22
	v_lshrrev_b32_e32 v22, 2, v31
	v_med3_i32 v20, v20, 0, 13
	s_or_b32 s0, s1, s0
	s_delay_alu instid0(VALU_DEP_3) | instskip(SKIP_3) | instid1(VALU_DEP_3)
	v_or_b32_e32 v31, 0x1000, v14
	s_wait_alu 0xfffe
	v_add_co_ci_u32_e64 v22, s0, 0, v22, s0
	v_cmp_ne_u32_e64 s0, 0, v28
	v_lshrrev_b32_e32 v32, v20, v31
	s_wait_alu 0xf1ff
	s_delay_alu instid0(VALU_DEP_2) | instskip(SKIP_1) | instid1(VALU_DEP_3)
	v_cndmask_b32_e64 v28, 0, 1, s0
	v_cmp_gt_i32_e64 s0, 31, v29
	v_lshlrev_b32_e32 v20, v20, v32
	v_and_or_b32 v6, 0x1ff, v7, v6
	s_delay_alu instid0(VALU_DEP_4) | instskip(SKIP_4) | instid1(VALU_DEP_1)
	v_lshl_or_b32 v28, v28, 9, 0x7c00
	s_wait_alu 0xf1ff
	v_cndmask_b32_e64 v22, 0x7c00, v22, s0
	v_cmp_eq_u32_e64 s0, 0x40f, v29
	s_wait_alu 0xf1ff
	v_cndmask_b32_e64 v4, v22, v28, s0
	v_cmp_ne_u32_e64 s0, v20, v31
	v_lshrrev_b32_e32 v22, 8, v7
	v_bfe_u32 v31, v7, 20, 11
	v_mul_f64_e32 v[26:27], s[8:9], v[26:27]
	v_cvt_f64_f32_e32 v[28:29], v2
	s_wait_alu 0xf1ff
	v_cndmask_b32_e64 v20, 0, 1, s0
	v_cmp_ne_u32_e64 s0, 0, v6
	v_add_nc_u32_e32 v2, 0xfffffc10, v34
	v_and_or_b32 v34, 0x8000, v10, v9
	v_and_or_b32 v4, 0x8000, v21, v4
	v_or_b32_e32 v20, v32, v20
	s_wait_alu 0xf1ff
	v_cndmask_b32_e64 v6, 0, 1, s0
	v_lshl_or_b32 v32, v2, 12, v14
	v_cmp_gt_i32_e64 s0, 1, v2
	ds_load_2addr_b32 v[9:10], v1 offset0:110 offset1:165
	v_and_b32_e32 v1, 0xffff, v34
	v_and_or_b32 v6, 0xffe, v22, v6
	v_sub_nc_u32_e32 v22, 0x3f1, v31
	s_wait_alu 0xf1ff
	v_cndmask_b32_e64 v20, v32, v20, s0
	s_clause 0x1
	global_store_b32 v[18:19], v30, off
	global_store_b32 v[24:25], v0, off
	v_lshl_or_b32 v4, v4, 16, v1
	v_or_b32_e32 v33, 0x1000, v6
	v_med3_i32 v22, v22, 0, 13
	v_and_b32_e32 v32, 7, v20
	v_lshrrev_b32_e32 v1, 2, v20
	v_add_nc_u32_e32 v20, 0xfffffc10, v31
	v_lshrrev_b32_e32 v7, 16, v7
	v_lshrrev_b32_e32 v21, v22, v33
	v_cmp_lt_i32_e64 s0, 5, v32
	v_cmp_eq_u32_e64 s1, 3, v32
	v_lshl_or_b32 v18, v20, 12, v6
	s_delay_alu instid0(VALU_DEP_4) | instskip(NEXT) | instid1(VALU_DEP_3)
	v_lshlrev_b32_e32 v0, v22, v21
	s_or_b32 s0, s1, s0
	s_wait_alu 0xfffe
	v_add_co_ci_u32_e64 v1, s0, 0, v1, s0
	s_delay_alu instid0(VALU_DEP_2) | instskip(SKIP_3) | instid1(VALU_DEP_3)
	v_cmp_ne_u32_e64 s2, v0, v33
	v_cmp_ne_u32_e64 s0, 0, v14
	v_bfe_u32 v30, v27, 20, 11
	s_wait_alu 0xf1ff
	v_cndmask_b32_e64 v0, 0, 1, s2
	s_delay_alu instid0(VALU_DEP_3) | instskip(SKIP_2) | instid1(VALU_DEP_4)
	v_cndmask_b32_e64 v14, 0, 1, s0
	v_cmp_gt_i32_e64 s0, 1, v20
	v_cmp_eq_u32_e64 s2, 0x40f, v2
	v_or_b32_e32 v0, v21, v0
	s_wait_dscnt 0x0
	v_lshrrev_b32_e32 v21, 16, v9
	v_lshl_or_b32 v14, v14, 9, 0x7c00
	s_wait_alu 0xf1ff
	v_cndmask_b32_e64 v22, v18, v0, s0
	v_and_or_b32 v0, 0x1ff, v27, v26
	v_mul_f64_e32 v[18:19], s[8:9], v[28:29]
	v_mul_f16_e32 v26, v125, v21
	v_cmp_gt_i32_e64 s0, 31, v2
	v_lshrrev_b32_e32 v29, 8, v27
	v_lshrrev_b32_e32 v27, 16, v27
	s_delay_alu instid0(VALU_DEP_4)
	v_fmac_f16_e32 v26, v123, v9
	s_wait_alu 0xf1ff
	v_cndmask_b32_e64 v28, 0x7c00, v1, s0
	v_cmp_ne_u32_e64 s0, 0, v0
	v_and_b32_e32 v1, 7, v22
	v_mul_f16_e32 v9, v125, v9
	v_cvt_f32_f16_e32 v26, v26
	v_cndmask_b32_e64 v2, v28, v14, s2
	s_wait_alu 0xf1ff
	v_cndmask_b32_e64 v0, 0, 1, s0
	v_cmp_lt_i32_e64 s0, 5, v1
	v_cmp_eq_u32_e64 s1, 3, v1
	v_lshrrev_b32_e32 v14, 2, v22
	v_and_or_b32 v2, 0x8000, v23, v2
	v_and_or_b32 v31, 0xffe, v29, v0
	v_cvt_f64_f32_e32 v[0:1], v26
	v_sub_nc_u32_e32 v29, 0x3f1, v30
	s_or_b32 s0, s1, s0
	v_fma_f16 v9, v123, v21, -v9
	s_wait_alu 0xfffe
	v_add_co_ci_u32_e64 v14, s0, 0, v14, s0
	v_or_b32_e32 v22, 0x1000, v31
	v_med3_i32 v26, v29, 0, 13
	v_cmp_ne_u32_e64 s0, 0, v6
	v_cvt_f32_f16_e32 v9, v9
	s_delay_alu instid0(VALU_DEP_3) | instskip(SKIP_1) | instid1(VALU_DEP_3)
	v_lshrrev_b32_e32 v28, v26, v22
	s_wait_alu 0xf1ff
	v_cndmask_b32_e64 v6, 0, 1, s0
	v_cmp_gt_i32_e64 s0, 31, v20
	s_delay_alu instid0(VALU_DEP_3) | instskip(NEXT) | instid1(VALU_DEP_3)
	v_lshlrev_b32_e32 v23, v26, v28
	v_lshl_or_b32 v6, v6, 9, 0x7c00
	s_wait_alu 0xf1ff
	s_delay_alu instid0(VALU_DEP_3)
	v_cndmask_b32_e64 v14, 0x7c00, v14, s0
	v_cmp_eq_u32_e64 s0, 0x40f, v20
	v_add_nc_u32_e32 v26, 0xfffffc10, v30
	v_bfe_u32 v30, v19, 20, 11
	v_cvt_f64_f32_e32 v[20:21], v9
	s_wait_alu 0xf1ff
	v_cndmask_b32_e64 v6, v14, v6, s0
	v_and_or_b32 v14, 0x1ff, v19, v18
	v_cmp_ne_u32_e64 s0, v23, v22
	v_lshrrev_b32_e32 v22, 8, v19
	v_sub_nc_u32_e32 v29, 0x3f1, v30
	v_and_or_b32 v9, 0x8000, v7, v6
	ds_load_2addr_b32 v[6:7], v66 offset0:107 offset1:162
	s_wait_alu 0xf1ff
	v_cndmask_b32_e64 v18, 0, 1, s0
	v_cmp_ne_u32_e64 s0, 0, v14
	v_lshrrev_b32_e32 v19, 16, v19
	s_delay_alu instid0(VALU_DEP_3) | instskip(SKIP_1) | instid1(VALU_DEP_3)
	v_or_b32_e32 v18, v28, v18
	s_wait_alu 0xf1ff
	v_cndmask_b32_e64 v14, 0, 1, s0
	v_lshl_or_b32 v28, v26, 12, v31
	v_cmp_gt_i32_e64 s0, 1, v26
	s_delay_alu instid0(VALU_DEP_3)
	v_and_or_b32 v14, 0xffe, v22, v14
	v_mul_f64_e32 v[22:23], s[8:9], v[0:1]
	v_and_b32_e32 v0, 0xffff, v2
	s_wait_alu 0xf1ff
	v_cndmask_b32_e64 v1, v28, v18, s0
	v_med3_i32 v18, v29, 0, 13
	v_or_b32_e32 v2, 0x1000, v14
	v_add_co_u32 v24, s0, v24, s6
	s_wait_alu 0xf1ff
	v_add_co_ci_u32_e64 v25, s0, s7, v25, s0
	s_delay_alu instid0(VALU_DEP_3) | instskip(SKIP_3) | instid1(VALU_DEP_4)
	v_lshrrev_b32_e32 v32, v18, v2
	v_lshl_or_b32 v9, v9, 16, v0
	v_and_b32_e32 v0, 7, v1
	v_add_co_u32 v28, s0, v24, s6
	v_lshlrev_b32_e32 v18, v18, v32
	s_wait_alu 0xf1ff
	v_add_co_ci_u32_e64 v29, s0, s7, v25, s0
	v_cmp_lt_i32_e64 s0, 5, v0
	v_cmp_eq_u32_e64 s1, 3, v0
	v_lshrrev_b32_e32 v0, 2, v1
	v_cmp_ne_u32_e64 s2, v18, v2
	s_wait_dscnt 0x0
	v_lshrrev_b32_e32 v33, 16, v6
	v_add_nc_u32_e32 v2, 0xfffffc10, v30
	s_or_b32 s0, s1, s0
	v_mul_f64_e32 v[20:21], s[8:9], v[20:21]
	s_wait_alu 0xfffe
	v_add_co_ci_u32_e64 v0, s0, 0, v0, s0
	v_cndmask_b32_e64 v1, 0, 1, s2
	v_cmp_ne_u32_e64 s0, 0, v31
	v_mul_f16_e32 v18, v122, v33
	v_lshl_or_b32 v30, v2, 12, v14
	s_delay_alu instid0(VALU_DEP_4)
	v_or_b32_e32 v1, v32, v1
	s_wait_alu 0xf1ff
	v_cndmask_b32_e64 v31, 0, 1, s0
	v_cmp_gt_i32_e64 s0, 1, v2
	v_fmac_f16_e32 v18, v120, v6
	v_mul_f16_e32 v6, v122, v6
	v_and_or_b32 v22, 0x1ff, v23, v22
	s_wait_alu 0xf1ff
	v_cndmask_b32_e64 v30, v30, v1, s0
	v_cmp_gt_i32_e64 s0, 31, v26
	v_cvt_f32_f16_e32 v1, v18
	v_lshl_or_b32 v31, v31, 9, 0x7c00
	v_lshrrev_b32_e32 v34, 8, v23
	v_and_b32_e32 v32, 7, v30
	s_wait_alu 0xf1ff
	v_cndmask_b32_e64 v18, 0x7c00, v0, s0
	v_cmp_ne_u32_e64 s0, 0, v22
	v_cvt_f64_f32_e32 v[0:1], v1
	v_bfe_u32 v35, v23, 20, 11
	v_cmp_eq_u32_e64 s1, 3, v32
	v_lshrrev_b32_e32 v30, 2, v30
	s_wait_alu 0xf1ff
	v_cndmask_b32_e64 v22, 0, 1, s0
	v_cmp_eq_u32_e64 s0, 0x40f, v26
	v_sub_nc_u32_e32 v26, 0x3f1, v35
	v_add_nc_u32_e32 v35, 0xfffffc10, v35
	s_delay_alu instid0(VALU_DEP_4)
	v_and_or_b32 v22, 0xffe, v34, v22
	s_wait_alu 0xf1ff
	v_cndmask_b32_e64 v18, v18, v31, s0
	v_cmp_lt_i32_e64 s0, 5, v32
	v_med3_i32 v26, v26, 0, 13
	v_cmp_eq_u32_e64 s2, 0x40f, v35
	v_or_b32_e32 v31, 0x1000, v22
	v_and_or_b32 v18, 0x8000, v27, v18
	s_or_b32 s0, s1, s0
	v_and_or_b32 v20, 0x1ff, v21, v20
	s_wait_alu 0xfffe
	v_add_co_ci_u32_e64 v30, s0, 0, v30, s0
	v_cmp_ne_u32_e64 s0, 0, v14
	v_lshrrev_b32_e32 v32, v26, v31
	v_and_b32_e32 v18, 0xffff, v18
	s_wait_alu 0xf1ff
	s_delay_alu instid0(VALU_DEP_3) | instskip(SKIP_2) | instid1(VALU_DEP_3)
	v_cndmask_b32_e64 v14, 0, 1, s0
	v_cmp_gt_i32_e64 s0, 31, v2
	v_lshlrev_b32_e32 v26, v26, v32
	v_lshl_or_b32 v14, v14, 9, 0x7c00
	s_wait_alu 0xf1ff
	s_delay_alu instid0(VALU_DEP_3) | instskip(SKIP_4) | instid1(VALU_DEP_3)
	v_cndmask_b32_e64 v27, 0x7c00, v30, s0
	v_cmp_eq_u32_e64 s0, 0x40f, v2
	v_fma_f16 v2, v120, v33, -v6
	v_bfe_u32 v33, v21, 20, 11
	s_wait_alu 0xf1ff
	v_cndmask_b32_e64 v14, v27, v14, s0
	v_cmp_ne_u32_e64 s0, v26, v31
	v_cvt_f32_f16_e32 v2, v2
	v_mul_f64_e32 v[26:27], s[8:9], v[0:1]
	s_delay_alu instid0(VALU_DEP_4)
	v_and_or_b32 v14, 0x8000, v19, v14
	s_wait_alu 0xf1ff
	v_cndmask_b32_e64 v34, 0, 1, s0
	v_cmp_ne_u32_e64 s0, 0, v20
	v_lshrrev_b32_e32 v20, 8, v21
	v_cvt_f64_f32_e32 v[30:31], v2
	ds_load_2addr_b32 v[1:2], v69 offset0:104 offset1:159
	s_clause 0x1
	global_store_b32 v[24:25], v4, off
	global_store_b32 v[28:29], v9, off
	s_wait_alu 0xf1ff
	v_cndmask_b32_e64 v6, 0, 1, s0
	v_cmp_gt_i32_e64 s0, 1, v35
	v_lshl_or_b32 v4, v14, 16, v18
	v_lshrrev_b32_e32 v21, 16, v21
	s_delay_alu instid0(VALU_DEP_4)
	v_and_or_b32 v0, 0xffe, v20, v6
	v_sub_nc_u32_e32 v6, 0x3f1, v33
	v_or_b32_e32 v20, v32, v34
	v_lshl_or_b32 v32, v35, 12, v22
	v_add_nc_u32_e32 v33, 0xfffffc10, v33
	v_or_b32_e32 v34, 0x1000, v0
	v_med3_i32 v6, v6, 0, 13
	s_wait_alu 0xf1ff
	v_cndmask_b32_e64 v20, v32, v20, s0
	v_add_co_u32 v18, s0, v28, s6
	s_delay_alu instid0(VALU_DEP_3)
	v_lshrrev_b32_e32 v32, v6, v34
	s_wait_alu 0xf1ff
	v_add_co_ci_u32_e64 v19, s0, s7, v29, s0
	v_and_b32_e32 v9, 7, v20
	s_wait_dscnt 0x0
	v_lshrrev_b32_e32 v14, 16, v1
	v_lshlrev_b32_e32 v6, v6, v32
	global_store_b32 v[18:19], v4, off
	v_cmp_lt_i32_e64 s0, 5, v9
	v_mul_f16_e32 v24, v121, v14
	v_cmp_ne_u32_e64 s1, v6, v34
	v_and_or_b32 v26, 0x1ff, v27, v26
	s_delay_alu instid0(VALU_DEP_3) | instskip(SKIP_1) | instid1(VALU_DEP_3)
	v_fmac_f16_e32 v24, v116, v1
	s_wait_alu 0xf1ff
	v_cndmask_b32_e64 v6, 0, 1, s1
	v_cmp_eq_u32_e64 s1, 3, v9
	v_lshrrev_b32_e32 v9, 2, v20
	v_lshl_or_b32 v20, v33, 12, v0
	v_cvt_f32_f16_e32 v28, v24
	v_or_b32_e32 v6, v32, v6
	s_or_b32 s0, s1, s0
	v_mul_f64_e32 v[24:25], s[8:9], v[30:31]
	s_wait_alu 0xfffe
	v_add_co_ci_u32_e64 v9, s0, 0, v9, s0
	v_cmp_gt_i32_e64 s0, 1, v33
	v_cvt_f64_f32_e32 v[28:29], v28
	v_bfe_u32 v30, v27, 20, 11
	v_mul_f16_e32 v1, v121, v1
	s_wait_alu 0xf1ff
	v_cndmask_b32_e64 v6, v20, v6, s0
	v_cmp_ne_u32_e64 s0, 0, v26
	v_lshrrev_b32_e32 v26, 8, v27
	v_fma_f16 v1, v116, v14, -v1
	s_delay_alu instid0(VALU_DEP_4)
	v_and_b32_e32 v31, 7, v6
	s_wait_alu 0xf1ff
	v_cndmask_b32_e64 v20, 0, 1, s0
	v_cmp_ne_u32_e64 s0, 0, v22
	v_lshrrev_b32_e32 v6, 2, v6
	v_cmp_eq_u32_e64 s1, 3, v31
	s_delay_alu instid0(VALU_DEP_4)
	v_and_or_b32 v20, 0xffe, v26, v20
	s_wait_alu 0xf1ff
	v_cndmask_b32_e64 v22, 0, 1, s0
	v_cmp_gt_i32_e64 s0, 31, v35
	v_sub_nc_u32_e32 v26, 0x3f1, v30
	v_or_b32_e32 v32, 0x1000, v20
	s_delay_alu instid0(VALU_DEP_4)
	v_lshl_or_b32 v22, v22, 9, 0x7c00
	s_wait_alu 0xf1ff
	v_cndmask_b32_e64 v9, 0x7c00, v9, s0
	v_cmp_lt_i32_e64 s0, 5, v31
	v_med3_i32 v26, v26, 0, 13
	v_lshrrev_b32_e32 v31, 16, v23
	s_delay_alu instid0(VALU_DEP_4) | instskip(NEXT) | instid1(VALU_DEP_4)
	v_cndmask_b32_e64 v9, v9, v22, s2
	s_or_b32 s0, s1, s0
	s_delay_alu instid0(VALU_DEP_3)
	v_lshrrev_b32_e32 v22, v26, v32
	s_wait_alu 0xfffe
	v_add_co_ci_u32_e64 v6, s0, 0, v6, s0
	v_cmp_gt_i32_e64 s0, 31, v33
	v_and_or_b32 v4, 0x8000, v31, v9
	v_lshlrev_b32_e32 v23, v26, v22
	v_add_nc_u32_e32 v26, 0xfffffc10, v30
	v_lshrrev_b32_e32 v34, 8, v25
	s_wait_alu 0xf1ff
	v_cndmask_b32_e64 v6, 0x7c00, v6, s0
	v_cmp_ne_u32_e64 s0, 0, v0
	v_bfe_u32 v35, v25, 20, 11
	v_cmp_eq_u32_e64 s2, 0x40f, v26
	v_and_b32_e32 v4, 0xffff, v4
	s_wait_alu 0xf1ff
	v_cndmask_b32_e64 v0, 0, 1, s0
	v_cmp_ne_u32_e64 s0, v23, v32
	s_delay_alu instid0(VALU_DEP_2)
	v_lshl_or_b32 v30, v0, 9, 0x7c00
	v_cvt_f32_f16_e32 v0, v1
	v_and_or_b32 v1, 0x1ff, v25, v24
	s_wait_alu 0xf1ff
	v_cndmask_b32_e64 v14, 0, 1, s0
	v_lshl_or_b32 v24, v26, 12, v20
	v_lshrrev_b32_e32 v25, 16, v25
	v_cmp_ne_u32_e64 s0, 0, v1
	s_delay_alu instid0(VALU_DEP_4)
	v_or_b32_e32 v14, v22, v14
	v_mul_f64_e32 v[22:23], s[8:9], v[28:29]
	v_cvt_f64_f32_e32 v[28:29], v0
	ds_load_2addr_b32 v[0:1], v65 offset0:101 offset1:156
	s_wait_alu 0xf1ff
	v_cndmask_b32_e64 v32, 0, 1, s0
	v_cmp_gt_i32_e64 s0, 1, v26
	s_wait_alu 0xf1ff
	s_delay_alu instid0(VALU_DEP_1) | instskip(NEXT) | instid1(VALU_DEP_3)
	v_cndmask_b32_e64 v14, v24, v14, s0
	v_and_or_b32 v24, 0xffe, v34, v32
	v_sub_nc_u32_e32 v32, 0x3f1, v35
	v_cmp_eq_u32_e64 s0, 0x40f, v33
	s_delay_alu instid0(VALU_DEP_4) | instskip(SKIP_1) | instid1(VALU_DEP_4)
	v_and_b32_e32 v33, 7, v14
	v_lshrrev_b32_e32 v14, 2, v14
	v_med3_i32 v32, v32, 0, 13
	s_wait_alu 0xf1ff
	v_cndmask_b32_e64 v6, v6, v30, s0
	v_or_b32_e32 v30, 0x1000, v24
	v_cmp_lt_i32_e64 s0, 5, v33
	v_cmp_eq_u32_e64 s1, 3, v33
	s_delay_alu instid0(VALU_DEP_4) | instskip(NEXT) | instid1(VALU_DEP_4)
	v_and_or_b32 v6, 0x8000, v21, v6
	v_lshrrev_b32_e32 v9, v32, v30
	s_wait_dscnt 0x0
	v_lshrrev_b32_e32 v31, 16, v0
	s_or_b32 s0, s1, s0
	s_wait_alu 0xfffe
	v_add_co_ci_u32_e64 v14, s0, 0, v14, s0
	v_lshlrev_b32_e32 v21, v32, v9
	v_mul_f16_e32 v32, v119, v31
	v_lshl_or_b32 v4, v6, 16, v4
	s_delay_alu instid0(VALU_DEP_3) | instskip(SKIP_1) | instid1(VALU_DEP_4)
	v_cmp_ne_u32_e64 s0, v21, v30
	v_add_nc_u32_e32 v30, 0xfffffc10, v35
	v_fmac_f16_e32 v32, v118, v0
	v_mul_f16_e32 v0, v119, v0
	v_and_or_b32 v22, 0x1ff, v23, v22
	s_wait_alu 0xf1ff
	v_cndmask_b32_e64 v21, 0, 1, s0
	v_cmp_ne_u32_e64 s0, 0, v20
	v_lshl_or_b32 v34, v30, 12, v24
	v_fma_f16 v0, v118, v31, -v0
	s_delay_alu instid0(VALU_DEP_4)
	v_or_b32_e32 v9, v9, v21
	s_wait_alu 0xf1ff
	v_cndmask_b32_e64 v33, 0, 1, s0
	v_cmp_gt_i32_e64 s0, 1, v30
	v_mul_f64_e32 v[20:21], s[8:9], v[28:29]
	v_cvt_f32_f16_e32 v28, v32
	v_lshrrev_b32_e32 v32, 8, v23
	v_lshl_or_b32 v33, v33, 9, 0x7c00
	s_wait_alu 0xf1ff
	v_cndmask_b32_e64 v9, v34, v9, s0
	v_cmp_ne_u32_e64 s0, 0, v22
	v_cvt_f64_f32_e32 v[28:29], v28
	v_bfe_u32 v34, v23, 20, 11
	v_cvt_f32_f16_e32 v0, v0
	v_and_b32_e32 v35, 7, v9
	s_wait_alu 0xf1ff
	v_cndmask_b32_e64 v22, 0, 1, s0
	v_cmp_gt_i32_e64 s0, 31, v26
	v_lshrrev_b32_e32 v9, 2, v9
	v_lshrrev_b32_e32 v26, 16, v27
	v_cmp_eq_u32_e64 s1, 3, v35
	v_and_or_b32 v22, 0xffe, v32, v22
	v_sub_nc_u32_e32 v32, 0x3f1, v34
	s_wait_alu 0xf1ff
	v_cndmask_b32_e64 v14, 0x7c00, v14, s0
	v_cmp_lt_i32_e64 s0, 5, v35
	v_or_b32_e32 v35, 0x1000, v22
	v_med3_i32 v32, v32, 0, 13
	s_delay_alu instid0(VALU_DEP_4) | instskip(NEXT) | instid1(VALU_DEP_4)
	v_cndmask_b32_e64 v14, v14, v33, s2
	s_or_b32 s0, s1, s0
	s_wait_alu 0xfffe
	v_add_co_ci_u32_e64 v9, s0, 0, v9, s0
	v_lshrrev_b32_e32 v27, v32, v35
	v_cmp_gt_i32_e64 s0, 31, v30
	v_and_or_b32 v6, 0x8000, v26, v14
	s_delay_alu instid0(VALU_DEP_3) | instskip(SKIP_1) | instid1(VALU_DEP_3)
	v_lshlrev_b32_e32 v14, v32, v27
	s_wait_alu 0xf1ff
	v_cndmask_b32_e64 v9, 0x7c00, v9, s0
	v_cmp_ne_u32_e64 s0, 0, v24
	v_add_nc_u32_e32 v32, 0xfffffc10, v34
	v_and_b32_e32 v6, 0xffff, v6
	v_and_or_b32 v20, 0x1ff, v21, v20
	s_wait_alu 0xf1ff
	v_cndmask_b32_e64 v24, 0, 1, s0
	v_cmp_ne_u32_e64 s0, v14, v35
	v_lshrrev_b32_e32 v33, 8, v21
	v_bfe_u32 v34, v21, 20, 11
	v_lshl_or_b32 v31, v32, 12, v22
	v_lshl_or_b32 v24, v24, 9, 0x7c00
	s_wait_alu 0xf1ff
	v_cndmask_b32_e64 v14, 0, 1, s0
	v_cmp_ne_u32_e64 s0, 0, v20
	s_delay_alu instid0(VALU_DEP_2) | instskip(SKIP_2) | instid1(VALU_DEP_3)
	v_or_b32_e32 v14, v27, v14
	v_mul_f64_e32 v[26:27], s[8:9], v[28:29]
	s_wait_alu 0xf1ff
	v_cndmask_b32_e64 v20, 0, 1, s0
	v_cvt_f64_f32_e32 v[28:29], v0
	v_cmp_eq_u32_e64 s0, 0x40f, v30
	s_delay_alu instid0(VALU_DEP_3) | instskip(SKIP_1) | instid1(VALU_DEP_2)
	v_and_or_b32 v20, 0xffe, v33, v20
	s_wait_alu 0xf1ff
	v_cndmask_b32_e64 v0, v9, v24, s0
	v_cmp_gt_i32_e64 s0, 1, v32
	v_sub_nc_u32_e32 v24, 0x3f1, v34
	s_delay_alu instid0(VALU_DEP_3) | instskip(SKIP_1) | instid1(VALU_DEP_3)
	v_and_or_b32 v0, 0x8000, v25, v0
	s_wait_alu 0xf1ff
	v_cndmask_b32_e64 v9, v31, v14, s0
	ds_load_2addr_b32 v[13:14], v13 offset0:98 offset1:153
	v_or_b32_e32 v31, 0x1000, v20
	v_med3_i32 v24, v24, 0, 13
	v_add_co_u32 v18, s0, v18, s6
	v_and_b32_e32 v30, 7, v9
	s_wait_alu 0xf1ff
	v_add_co_ci_u32_e64 v19, s0, s7, v19, s0
	v_lshrrev_b32_e32 v25, v24, v31
	v_lshl_or_b32 v0, v0, 16, v6
	v_cmp_lt_i32_e64 s0, 5, v30
	v_cmp_eq_u32_e64 s1, 3, v30
	global_store_b32 v[18:19], v4, off
	v_lshrrev_b32_e32 v4, 2, v9
	v_lshlrev_b32_e32 v6, v24, v25
	v_add_nc_u32_e32 v30, 0xfffffc10, v34
	s_or_b32 s0, s1, s0
	s_wait_alu 0xfffe
	v_add_co_ci_u32_e64 v4, s0, 0, v4, s0
	v_cmp_ne_u32_e64 s0, v6, v31
	s_wait_dscnt 0x0
	v_lshrrev_b32_e32 v9, 16, v13
	v_lshl_or_b32 v33, v30, 12, v20
	v_and_or_b32 v26, 0x1ff, v27, v26
	v_bfe_u32 v34, v27, 20, 11
	s_wait_alu 0xf1ff
	v_cndmask_b32_e64 v6, 0, 1, s0
	v_cmp_ne_u32_e64 s0, 0, v22
	v_mul_f16_e32 v31, v117, v9
	s_delay_alu instid0(VALU_DEP_3) | instskip(SKIP_1) | instid1(VALU_DEP_3)
	v_or_b32_e32 v6, v25, v6
	s_wait_alu 0xf1ff
	v_cndmask_b32_e64 v22, 0, 1, s0
	v_mul_f64_e32 v[24:25], s[8:9], v[28:29]
	v_cmp_ne_u32_e64 s0, 0, v26
	v_fmac_f16_e32 v31, v115, v13
	v_lshrrev_b32_e32 v28, 8, v27
	v_lshl_or_b32 v22, v22, 9, 0x7c00
	v_mul_f16_e32 v13, v117, v13
	s_wait_alu 0xf1ff
	v_cndmask_b32_e64 v26, 0, 1, s0
	v_cmp_gt_i32_e64 s0, 1, v30
	v_cvt_f32_f16_e32 v29, v31
	v_sub_nc_u32_e32 v31, 0x3f1, v34
	v_fma_f16 v9, v115, v9, -v13
	v_and_or_b32 v26, 0xffe, v28, v26
	s_wait_alu 0xf1ff
	v_cndmask_b32_e64 v6, v33, v6, s0
	v_cmp_gt_i32_e64 s0, 31, v32
	v_cvt_f64_f32_e32 v[28:29], v29
	v_med3_i32 v31, v31, 0, 13
	v_or_b32_e32 v35, 0x1000, v26
	v_and_b32_e32 v33, 7, v6
	s_wait_alu 0xf1ff
	v_cndmask_b32_e64 v4, 0x7c00, v4, s0
	v_cmp_eq_u32_e64 s0, 0x40f, v32
	v_lshrrev_b32_e32 v6, 2, v6
	v_lshrrev_b32_e32 v32, v31, v35
	v_cmp_eq_u32_e64 s1, 3, v33
	v_cvt_f32_f16_e32 v9, v9
	s_wait_alu 0xf1ff
	v_cndmask_b32_e64 v4, v4, v22, s0
	v_cmp_lt_i32_e64 s0, 5, v33
	v_lshrrev_b32_e32 v22, 16, v23
	v_lshrrev_b32_e32 v27, 16, v27
	s_delay_alu instid0(VALU_DEP_3) | instskip(NEXT) | instid1(VALU_DEP_2)
	s_or_b32 s0, s1, s0
	v_and_or_b32 v4, 0x8000, v22, v4
	s_wait_alu 0xfffe
	v_add_co_ci_u32_e64 v6, s0, 0, v6, s0
	v_lshlrev_b32_e32 v22, v31, v32
	v_cmp_ne_u32_e64 s0, 0, v20
	v_add_nc_u32_e32 v31, 0xfffffc10, v34
	v_and_b32_e32 v4, 0xffff, v4
	v_and_or_b32 v24, 0x1ff, v25, v24
	v_bfe_u32 v33, v25, 20, 11
	s_wait_alu 0xf1ff
	v_cndmask_b32_e64 v13, 0, 1, s0
	v_cmp_ne_u32_e64 s0, v22, v35
	v_cvt_f64_f32_e32 v[22:23], v9
	s_delay_alu instid0(VALU_DEP_3) | instskip(SKIP_1) | instid1(VALU_DEP_3)
	v_lshl_or_b32 v9, v13, 9, 0x7c00
	s_wait_alu 0xf1ff
	v_cndmask_b32_e64 v20, 0, 1, s0
	v_cmp_gt_i32_e64 s0, 31, v30
	s_delay_alu instid0(VALU_DEP_2) | instskip(SKIP_1) | instid1(VALU_DEP_2)
	v_or_b32_e32 v13, v32, v20
	s_wait_alu 0xf1ff
	v_cndmask_b32_e64 v6, 0x7c00, v6, s0
	v_cmp_ne_u32_e64 s0, 0, v24
	v_lshl_or_b32 v20, v31, 12, v26
	v_lshrrev_b32_e32 v32, 8, v25
	v_mul_f64_e32 v[28:29], s[8:9], v[28:29]
	s_wait_alu 0xf1ff
	v_cndmask_b32_e64 v24, 0, 1, s0
	v_cmp_gt_i32_e64 s0, 1, v31
	s_delay_alu instid0(VALU_DEP_2) | instskip(SKIP_1) | instid1(VALU_DEP_2)
	v_and_or_b32 v24, 0xffe, v32, v24
	s_wait_alu 0xf1ff
	v_cndmask_b32_e64 v13, v20, v13, s0
	v_cmp_eq_u32_e64 s0, 0x40f, v30
	v_sub_nc_u32_e32 v20, 0x3f1, v33
	v_or_b32_e32 v30, 0x1000, v24
	s_wait_alu 0xf1ff
	s_delay_alu instid0(VALU_DEP_3)
	v_cndmask_b32_e64 v6, v6, v9, s0
	v_lshrrev_b32_e32 v9, 16, v21
	v_and_b32_e32 v21, 7, v13
	v_add_co_u32 v18, s0, v18, s6
	s_wait_alu 0xf1ff
	v_add_co_ci_u32_e64 v19, s0, s7, v19, s0
	v_med3_i32 v20, v20, 0, 13
	v_cmp_lt_i32_e64 s0, 5, v21
	v_cmp_eq_u32_e64 s1, 3, v21
	global_store_b32 v[18:19], v0, off
	v_lshrrev_b32_e32 v0, 2, v13
	v_and_or_b32 v6, 0x8000, v9, v6
	v_lshrrev_b32_e32 v9, v20, v30
	s_or_b32 s0, s1, s0
	s_wait_alu 0xfffe
	v_add_co_ci_u32_e64 v0, s0, 0, v0, s0
	v_lshl_or_b32 v4, v6, 16, v4
	v_lshlrev_b32_e32 v6, v20, v9
	v_cmp_ne_u32_e64 s0, 0, v26
	v_mul_f64_e32 v[20:21], s[8:9], v[22:23]
	v_lshrrev_b32_e32 v26, 16, v15
	v_and_or_b32 v22, 0x1ff, v29, v28
	s_wait_alu 0xf1ff
	v_cndmask_b32_e64 v13, 0, 1, s0
	v_cmp_ne_u32_e64 s0, v6, v30
	v_add_nc_u32_e32 v30, 0xfffffc10, v33
	v_mul_f16_e32 v23, v114, v26
	v_bfe_u32 v28, v29, 20, 11
	v_lshl_or_b32 v13, v13, 9, 0x7c00
	s_wait_alu 0xf1ff
	v_cndmask_b32_e64 v6, 0, 1, s0
	v_cmp_gt_i32_e64 s0, 31, v31
	v_fmac_f16_e32 v23, v112, v15
	v_mul_f16_e32 v15, v114, v15
	s_delay_alu instid0(VALU_DEP_4)
	v_or_b32_e32 v6, v9, v6
	s_wait_alu 0xf1ff
	v_cndmask_b32_e64 v0, 0x7c00, v0, s0
	v_cmp_eq_u32_e64 s0, 0x40f, v31
	v_lshl_or_b32 v9, v30, 12, v24
	v_fma_f16 v15, v112, v26, -v15
	s_wait_alu 0xf1ff
	s_delay_alu instid0(VALU_DEP_3)
	v_cndmask_b32_e64 v0, v0, v13, s0
	v_cmp_gt_i32_e64 s0, 1, v30
	v_lshrrev_b32_e32 v13, 8, v29
	v_cvt_f32_f16_e32 v15, v15
	v_lshrrev_b32_e32 v29, 16, v29
	v_and_or_b32 v0, 0x8000, v27, v0
	s_wait_alu 0xf1ff
	v_cndmask_b32_e64 v6, v9, v6, s0
	v_cmp_ne_u32_e64 s0, 0, v22
	v_cvt_f32_f16_e32 v22, v23
	v_and_b32_e32 v0, 0xffff, v0
	s_delay_alu instid0(VALU_DEP_4)
	v_and_b32_e32 v31, 7, v6
	s_wait_alu 0xf1ff
	v_cndmask_b32_e64 v9, 0, 1, s0
	v_add_co_u32 v18, s0, v18, s6
	v_cvt_f64_f32_e32 v[22:23], v22
	s_wait_alu 0xf1ff
	v_add_co_ci_u32_e64 v19, s0, s7, v19, s0
	v_and_or_b32 v9, 0xffe, v13, v9
	v_sub_nc_u32_e32 v13, 0x3f1, v28
	v_cmp_lt_i32_e64 s0, 5, v31
	v_cmp_eq_u32_e64 s1, 3, v31
	v_lshrrev_b32_e32 v6, 2, v6
	v_or_b32_e32 v32, 0x1000, v9
	v_med3_i32 v13, v13, 0, 13
	v_and_or_b32 v20, 0x1ff, v21, v20
	s_or_b32 s0, s1, s0
	v_lshrrev_b32_e32 v26, 8, v21
	s_wait_alu 0xfffe
	v_add_co_ci_u32_e64 v6, s0, 0, v6, s0
	v_lshrrev_b32_e32 v31, v13, v32
	v_cmp_ne_u32_e64 s0, 0, v20
	v_bfe_u32 v33, v21, 20, 11
	s_delay_alu instid0(VALU_DEP_3) | instskip(SKIP_1) | instid1(VALU_DEP_3)
	v_lshlrev_b32_e32 v13, v13, v31
	s_wait_alu 0xf1ff
	v_cndmask_b32_e64 v20, 0, 1, s0
	v_cmp_ne_u32_e64 s0, 0, v24
	v_sub_nc_u32_e32 v34, 0x3f1, v33
	s_delay_alu instid0(VALU_DEP_3) | instskip(SKIP_1) | instid1(VALU_DEP_3)
	v_and_or_b32 v20, 0xffe, v26, v20
	s_wait_alu 0xf1ff
	v_cndmask_b32_e64 v24, 0, 1, s0
	v_cmp_ne_u32_e64 s0, v13, v32
	v_cvt_f64_f32_e32 v[26:27], v15
	v_add_nc_u32_e32 v15, 0xfffffc10, v28
	v_or_b32_e32 v28, 0x1000, v20
	v_med3_i32 v32, v34, 0, 13
	s_wait_alu 0xf1ff
	v_cndmask_b32_e64 v13, 0, 1, s0
	v_cmp_gt_i32_e64 s0, 31, v30
	v_lshl_or_b32 v24, v24, 9, 0x7c00
	v_lshrrev_b32_e32 v34, v32, v28
	s_delay_alu instid0(VALU_DEP_4)
	v_or_b32_e32 v13, v31, v13
	s_wait_alu 0xf1ff
	v_cndmask_b32_e64 v6, 0x7c00, v6, s0
	v_lshl_or_b32 v31, v15, 12, v9
	v_cmp_gt_i32_e64 s0, 1, v15
	v_mul_f64_e32 v[22:23], s[8:9], v[22:23]
	s_wait_alu 0xf1ff
	s_delay_alu instid0(VALU_DEP_2) | instskip(SKIP_4) | instid1(VALU_DEP_3)
	v_cndmask_b32_e64 v13, v31, v13, s0
	v_cmp_eq_u32_e64 s0, 0x40f, v30
	v_lshlrev_b32_e32 v31, v32, v34
	v_add_nc_u32_e32 v30, 0xfffffc10, v33
	s_wait_alu 0xf1ff
	v_cndmask_b32_e64 v6, v6, v24, s0
	v_lshrrev_b32_e32 v24, 16, v25
	v_and_b32_e32 v25, 7, v13
	v_cmp_ne_u32_e64 s0, v31, v28
	v_cmp_gt_i32_e64 s2, 1, v30
	v_lshrrev_b32_e32 v31, 16, v12
	v_and_or_b32 v6, 0x8000, v24, v6
	v_cmp_eq_u32_e64 s1, 3, v25
	s_wait_alu 0xf1ff
	v_cndmask_b32_e64 v28, 0, 1, s0
	v_cmp_lt_i32_e64 s0, 5, v25
	v_lshl_or_b32 v0, v6, 16, v0
	v_lshrrev_b32_e32 v6, 2, v13
	s_delay_alu instid0(VALU_DEP_4) | instskip(NEXT) | instid1(VALU_DEP_4)
	v_or_b32_e32 v24, v34, v28
	s_or_b32 s0, s1, s0
	v_lshl_or_b32 v28, v30, 12, v20
	s_wait_alu 0xfffe
	v_add_co_ci_u32_e64 v6, s0, 0, v6, s0
	v_cmp_ne_u32_e64 s0, 0, v9
	s_delay_alu instid0(VALU_DEP_3)
	v_cndmask_b32_e64 v13, v28, v24, s2
	v_mul_f64_e32 v[24:25], s[8:9], v[26:27]
	v_cmp_eq_u32_e64 s2, 0x40f, v15
	v_mul_f16_e32 v26, v113, v31
	s_wait_alu 0xf1ff
	v_cndmask_b32_e64 v9, 0, 1, s0
	v_cmp_gt_i32_e64 s0, 31, v15
	v_and_b32_e32 v28, 7, v13
	v_fmac_f16_e32 v26, v110, v12
	s_delay_alu instid0(VALU_DEP_4)
	v_lshl_or_b32 v9, v9, 9, 0x7c00
	s_wait_alu 0xf1ff
	v_cndmask_b32_e64 v6, 0x7c00, v6, s0
	v_cmp_lt_i32_e64 s0, 5, v28
	v_cmp_eq_u32_e64 s1, 3, v28
	v_bfe_u32 v28, v23, 20, 11
	v_mul_f16_e32 v12, v113, v12
	v_cndmask_b32_e64 v6, v6, v9, s2
	v_lshrrev_b32_e32 v9, 2, v13
	s_or_b32 s0, s1, s0
	v_and_or_b32 v13, 0x1ff, v23, v22
	v_lshrrev_b32_e32 v22, 8, v23
	v_and_or_b32 v6, 0x8000, v29, v6
	s_wait_alu 0xfffe
	v_add_co_ci_u32_e64 v9, s0, 0, v9, s0
	v_cmp_ne_u32_e64 s0, 0, v20
	v_cvt_f32_f16_e32 v20, v26
	v_fma_f16 v12, v110, v31, -v12
	v_and_b32_e32 v6, 0xffff, v6
	s_wait_alu 0xf1ff
	v_cndmask_b32_e64 v15, 0, 1, s0
	v_cmp_ne_u32_e64 s0, 0, v13
	v_cvt_f64_f32_e32 v[26:27], v20
	v_cvt_f32_f16_e32 v12, v12
	s_delay_alu instid0(VALU_DEP_4) | instskip(SKIP_3) | instid1(VALU_DEP_2)
	v_lshl_or_b32 v15, v15, 9, 0x7c00
	s_wait_alu 0xf1ff
	v_cndmask_b32_e64 v13, 0, 1, s0
	v_cmp_gt_i32_e64 s0, 31, v30
	v_and_or_b32 v22, 0xffe, v22, v13
	v_sub_nc_u32_e32 v13, 0x3f1, v28
	s_wait_alu 0xf1ff
	s_delay_alu instid0(VALU_DEP_3)
	v_cndmask_b32_e64 v9, 0x7c00, v9, s0
	v_cmp_eq_u32_e64 s0, 0x40f, v30
	v_and_or_b32 v24, 0x1ff, v25, v24
	v_or_b32_e32 v30, 0x1000, v22
	v_med3_i32 v13, v13, 0, 13
	v_bfe_u32 v29, v25, 20, 11
	s_wait_alu 0xf1ff
	v_cndmask_b32_e64 v9, v9, v15, s0
	v_add_co_u32 v20, s0, v18, s6
	v_lshrrev_b32_e32 v32, v13, v30
	v_lshrrev_b32_e32 v15, 16, v21
	s_wait_alu 0xf1ff
	v_add_co_ci_u32_e64 v21, s0, s7, v19, s0
	v_cmp_ne_u32_e64 s0, 0, v24
	v_lshlrev_b32_e32 v13, v13, v32
	v_and_or_b32 v9, 0x8000, v15, v9
	v_lshrrev_b32_e32 v24, 8, v25
	v_add_nc_u32_e32 v28, 0xfffffc10, v28
	s_wait_alu 0xf1ff
	v_cndmask_b32_e64 v15, 0, 1, s0
	v_cmp_ne_u32_e64 s0, v13, v30
	global_store_b32 v[18:19], v4, off
	global_store_b32 v[20:21], v0, off
	v_lshl_or_b32 v0, v9, 16, v6
	v_lshl_or_b32 v31, v28, 12, v22
	v_and_or_b32 v15, 0xffe, v24, v15
	s_wait_alu 0xf1ff
	v_cndmask_b32_e64 v13, 0, 1, s0
	v_sub_nc_u32_e32 v24, 0x3f1, v29
	v_cmp_gt_i32_e64 s0, 1, v28
	v_mul_f64_e32 v[26:27], s[8:9], v[26:27]
	v_add_nc_u32_e32 v9, 0xfffffc10, v29
	v_or_b32_e32 v30, v32, v13
	v_cvt_f64_f32_e32 v[12:13], v12
	v_or_b32_e32 v32, 0x1000, v15
	v_med3_i32 v24, v24, 0, 13
	s_wait_alu 0xf1ff
	v_cndmask_b32_e64 v30, v31, v30, s0
	v_add_co_u32 v18, s0, v20, s6
	s_delay_alu instid0(VALU_DEP_3)
	v_lshrrev_b32_e32 v31, v24, v32
	s_wait_alu 0xf1ff
	v_add_co_ci_u32_e64 v19, s0, s7, v21, s0
	v_and_b32_e32 v4, 7, v30
	v_lshl_or_b32 v20, v9, 12, v15
	v_lshlrev_b32_e32 v6, v24, v31
	v_lshrrev_b32_e32 v24, 16, v11
	global_store_b32 v[18:19], v0, off
	v_cmp_lt_i32_e64 s0, 5, v4
	v_cmp_eq_u32_e64 s1, 3, v4
	v_lshrrev_b32_e32 v4, 2, v30
	v_cmp_ne_u32_e64 s2, v6, v32
	s_delay_alu instid0(VALU_DEP_3) | instskip(SKIP_1) | instid1(VALU_DEP_2)
	s_or_b32 s0, s1, s0
	s_wait_alu 0xfffe
	v_add_co_ci_u32_e64 v4, s0, 0, v4, s0
	s_delay_alu instid0(VALU_DEP_2) | instskip(SKIP_2) | instid1(VALU_DEP_3)
	v_cndmask_b32_e64 v6, 0, 1, s2
	v_cmp_ne_u32_e64 s0, 0, v22
	v_mul_f16_e32 v22, v111, v24
	v_or_b32_e32 v6, v31, v6
	s_wait_alu 0xf1ff
	s_delay_alu instid0(VALU_DEP_3) | instskip(SKIP_4) | instid1(VALU_DEP_3)
	v_cndmask_b32_e64 v21, 0, 1, s0
	v_cmp_gt_i32_e64 s0, 1, v9
	v_fmac_f16_e32 v22, v108, v11
	v_mul_f16_e32 v11, v111, v11
	s_wait_alu 0xf1ff
	v_cndmask_b32_e64 v6, v20, v6, s0
	v_cmp_gt_i32_e64 s0, 31, v28
	v_lshl_or_b32 v20, v21, 9, 0x7c00
	v_mul_f64_e32 v[12:13], s[8:9], v[12:13]
	v_fma_f16 v11, v108, v24, -v11
	v_and_b32_e32 v21, 7, v6
	s_wait_alu 0xf1ff
	v_cndmask_b32_e64 v4, 0x7c00, v4, s0
	v_cmp_eq_u32_e64 s0, 0x40f, v28
	v_bfe_u32 v28, v27, 20, 11
	v_lshrrev_b32_e32 v6, 2, v6
	v_cmp_eq_u32_e64 s1, 3, v21
	v_cvt_f32_f16_e32 v11, v11
	s_wait_alu 0xf1ff
	v_cndmask_b32_e64 v4, v4, v20, s0
	v_cvt_f32_f16_e32 v20, v22
	v_and_or_b32 v22, 0x1ff, v27, v26
	v_cmp_lt_i32_e64 s0, 5, v21
	v_lshrrev_b32_e32 v26, 8, v27
	v_lshrrev_b32_e32 v24, 16, v23
	v_cvt_f64_f32_e32 v[20:21], v20
	v_cmp_ne_u32_e64 s2, 0, v22
	s_or_b32 s0, s1, s0
	s_wait_alu 0xfffe
	v_add_co_ci_u32_e64 v6, s0, 0, v6, s0
	s_delay_alu instid0(VALU_DEP_2)
	v_cndmask_b32_e64 v22, 0, 1, s2
	v_cmp_ne_u32_e64 s0, 0, v15
	v_and_or_b32 v0, 0x8000, v24, v4
	s_movk_i32 s2, 0xfb55
	s_mov_b32 s3, -1
	v_and_or_b32 v26, 0xffe, v26, v22
	v_sub_nc_u32_e32 v22, 0x3f1, v28
	s_wait_alu 0xf1ff
	v_cndmask_b32_e64 v15, 0, 1, s0
	v_cmp_gt_i32_e64 s0, 31, v9
	v_and_b32_e32 v0, 0xffff, v0
	v_or_b32_e32 v29, 0x1000, v26
	v_med3_i32 v30, v22, 0, 13
	v_cvt_f64_f32_e32 v[22:23], v11
	s_wait_alu 0xf1ff
	v_cndmask_b32_e64 v6, 0x7c00, v6, s0
	v_lshl_or_b32 v15, v15, 9, 0x7c00
	v_cmp_eq_u32_e64 s0, 0x40f, v9
	v_lshrrev_b32_e32 v31, v30, v29
	v_lshrrev_b32_e32 v9, 16, v25
	v_and_or_b32 v4, 0x1ff, v13, v12
	v_lshrrev_b32_e32 v24, 8, v13
	s_wait_alu 0xf1ff
	v_cndmask_b32_e64 v6, v6, v15, s0
	v_lshlrev_b32_e32 v11, v30, v31
	v_bfe_u32 v25, v13, 20, 11
	v_add_nc_u32_e32 v15, 0xfffffc10, v28
	v_lshrrev_b32_e32 v30, 16, v3
	v_and_or_b32 v6, 0x8000, v9, v6
	v_cmp_ne_u32_e64 s0, v11, v29
	v_lshrrev_b32_e32 v13, 16, v13
	s_delay_alu instid0(VALU_DEP_3) | instskip(SKIP_1) | instid1(VALU_DEP_3)
	v_lshl_or_b32 v0, v6, 16, v0
	s_wait_alu 0xf1ff
	v_cndmask_b32_e64 v9, 0, 1, s0
	v_cmp_ne_u32_e64 s0, 0, v4
	v_mul_f64_e32 v[11:12], s[8:9], v[20:21]
	v_lshl_or_b32 v20, v15, 12, v26
	s_delay_alu instid0(VALU_DEP_4) | instskip(SKIP_3) | instid1(VALU_DEP_2)
	v_or_b32_e32 v9, v31, v9
	s_wait_alu 0xf1ff
	v_cndmask_b32_e64 v4, 0, 1, s0
	v_cmp_gt_i32_e64 s0, 1, v15
	v_and_or_b32 v24, 0xffe, v24, v4
	v_sub_nc_u32_e32 v4, 0x3f1, v25
	s_wait_alu 0xf1ff
	s_delay_alu instid0(VALU_DEP_3)
	v_cndmask_b32_e64 v9, v20, v9, s0
	s_wait_alu 0xfffe
	s_mul_u64 s[0:1], s[4:5], s[2:3]
	v_add_nc_u32_e32 v25, 0xfffffc10, v25
	v_or_b32_e32 v28, 0x1000, v24
	v_med3_i32 v4, v4, 0, 13
	s_wait_alu 0xfffe
	s_lshl_b64 s[10:11], s[0:1], 2
	v_and_b32_e32 v6, 7, v9
	s_wait_alu 0xfffe
	v_add_co_u32 v18, s0, v18, s10
	v_lshrrev_b32_e32 v29, v4, v28
	s_wait_alu 0xf1ff
	v_add_co_ci_u32_e64 v19, s0, s11, v19, s0
	v_cmp_lt_i32_e64 s0, 5, v6
	v_cmp_eq_u32_e64 s1, 3, v6
	v_lshlrev_b32_e32 v4, v4, v29
	v_mul_f64_e32 v[20:21], s[8:9], v[22:23]
	v_lshrrev_b32_e32 v9, 2, v9
	v_mul_f16_e32 v6, v109, v30
	s_or_b32 s0, s1, s0
	v_cmp_ne_u32_e64 s2, v4, v28
	v_lshl_or_b32 v28, v25, 12, v24
	s_wait_alu 0xfffe
	v_add_co_ci_u32_e64 v9, s0, 0, v9, s0
	v_cmp_ne_u32_e64 s0, 0, v26
	s_wait_alu 0xf1ff
	v_cndmask_b32_e64 v4, 0, 1, s2
	v_fmac_f16_e32 v6, v106, v3
	v_mul_f16_e32 v3, v109, v3
	v_and_or_b32 v11, 0x1ff, v12, v11
	v_cndmask_b32_e64 v26, 0, 1, s0
	v_or_b32_e32 v4, v29, v4
	v_cmp_gt_i32_e64 s0, 1, v25
	v_cvt_f32_f16_e32 v6, v6
	v_fma_f16 v3, v106, v30, -v3
	v_lshl_or_b32 v26, v26, 9, 0x7c00
	global_store_b32 v[18:19], v0, off
	s_wait_alu 0xf1ff
	v_cndmask_b32_e64 v4, v28, v4, s0
	v_cmp_ne_u32_e64 s0, 0, v11
	v_cvt_f64_f32_e32 v[22:23], v6
	v_lshrrev_b32_e32 v11, 8, v12
	v_bfe_u32 v28, v12, 20, 11
	v_and_b32_e32 v29, 7, v4
	s_wait_alu 0xf1ff
	v_cndmask_b32_e64 v6, 0, 1, s0
	v_cmp_gt_i32_e64 s0, 31, v15
	v_lshrrev_b32_e32 v4, 2, v4
	v_cvt_f32_f16_e32 v31, v3
	v_cmp_eq_u32_e64 s1, 3, v29
	v_and_or_b32 v6, 0xffe, v11, v6
	v_sub_nc_u32_e32 v11, 0x3f1, v28
	s_wait_alu 0xf1ff
	v_cndmask_b32_e64 v9, 0x7c00, v9, s0
	v_cmp_eq_u32_e64 s0, 0x40f, v15
	v_add_nc_u32_e32 v28, 0xfffffc10, v28
	v_or_b32_e32 v15, 0x1000, v6
	v_med3_i32 v11, v11, 0, 13
	v_and_or_b32 v20, 0x1ff, v21, v20
	s_wait_alu 0xf1ff
	v_cndmask_b32_e64 v9, v9, v26, s0
	v_cmp_lt_i32_e64 s0, 5, v29
	v_lshrrev_b32_e32 v26, 16, v27
	v_lshrrev_b32_e32 v27, v11, v15
	v_bfe_u32 v30, v21, 20, 11
	v_lshrrev_b32_e32 v12, 16, v12
	s_or_b32 s0, s1, s0
	v_and_or_b32 v9, 0x8000, v26, v9
	s_wait_alu 0xfffe
	v_add_co_ci_u32_e64 v29, s0, 0, v4, s0
	v_lshlrev_b32_e32 v4, v11, v27
	v_cmp_ne_u32_e64 s0, 0, v20
	v_lshrrev_b32_e32 v20, 8, v21
	v_and_b32_e32 v9, 0xffff, v9
	s_wait_alu 0xf1ff
	s_delay_alu instid0(VALU_DEP_3) | instskip(SKIP_1) | instid1(VALU_DEP_2)
	v_cndmask_b32_e64 v11, 0, 1, s0
	v_cmp_ne_u32_e64 s0, v4, v15
	v_and_or_b32 v11, 0xffe, v20, v11
	s_wait_alu 0xf1ff
	s_delay_alu instid0(VALU_DEP_2)
	v_cndmask_b32_e64 v15, 0, 1, s0
	v_cmp_ne_u32_e64 s0, 0, v24
	v_sub_nc_u32_e32 v20, 0x3f1, v30
	v_mul_f64_e32 v[3:4], s[8:9], v[22:23]
	v_cvt_f64_f32_e32 v[22:23], v31
	v_or_b32_e32 v15, v27, v15
	s_wait_alu 0xf1ff
	v_cndmask_b32_e64 v24, 0, 1, s0
	v_cmp_gt_i32_e64 s0, 31, v25
	v_lshl_or_b32 v27, v28, 12, v6
	v_or_b32_e32 v31, 0x1000, v11
	v_med3_i32 v20, v20, 0, 13
	v_lshl_or_b32 v24, v24, 9, 0x7c00
	s_wait_alu 0xf1ff
	v_cndmask_b32_e64 v29, 0x7c00, v29, s0
	v_cmp_gt_i32_e64 s0, 1, v28
	s_wait_alu 0xf1ff
	s_delay_alu instid0(VALU_DEP_1) | instskip(SKIP_2) | instid1(VALU_DEP_3)
	v_cndmask_b32_e64 v15, v27, v15, s0
	v_lshrrev_b32_e32 v27, v20, v31
	v_cmp_eq_u32_e64 s0, 0x40f, v25
	v_and_b32_e32 v25, 7, v15
	s_delay_alu instid0(VALU_DEP_3) | instskip(SKIP_1) | instid1(VALU_DEP_3)
	v_lshlrev_b32_e32 v20, v20, v27
	s_wait_alu 0xf1ff
	v_cndmask_b32_e64 v24, v29, v24, s0
	s_delay_alu instid0(VALU_DEP_3) | instskip(NEXT) | instid1(VALU_DEP_3)
	v_cmp_lt_i32_e64 s0, 5, v25
	v_cmp_ne_u32_e64 s1, v20, v31
	s_delay_alu instid0(VALU_DEP_3) | instskip(SKIP_2) | instid1(VALU_DEP_3)
	v_and_or_b32 v0, 0x8000, v13, v24
	v_add_nc_u32_e32 v20, 0xfffffc10, v30
	s_wait_alu 0xf1ff
	v_cndmask_b32_e64 v13, 0, 1, s1
	v_cmp_eq_u32_e64 s1, 3, v25
	v_lshl_or_b32 v0, v0, 16, v9
	v_lshrrev_b32_e32 v9, 2, v15
	v_lshl_or_b32 v15, v20, 12, v11
	v_or_b32_e32 v13, v27, v13
	s_or_b32 s0, s1, s0
	v_and_or_b32 v3, 0x1ff, v4, v3
	s_wait_alu 0xfffe
	v_add_co_ci_u32_e64 v9, s0, 0, v9, s0
	v_cmp_ne_u32_e64 s0, 0, v6
	v_mul_f64_e32 v[22:23], s[8:9], v[22:23]
	v_lshrrev_b32_e32 v26, 8, v4
	v_bfe_u32 v27, v4, 20, 11
	v_lshrrev_b32_e32 v4, 16, v4
	s_wait_alu 0xf1ff
	v_cndmask_b32_e64 v6, 0, 1, s0
	v_cmp_gt_i32_e64 s0, 1, v20
	s_delay_alu instid0(VALU_DEP_2) | instskip(SKIP_1) | instid1(VALU_DEP_2)
	v_lshl_or_b32 v6, v6, 9, 0x7c00
	s_wait_alu 0xf1ff
	v_cndmask_b32_e64 v13, v15, v13, s0
	v_lshrrev_b32_e32 v15, 16, v8
	v_cmp_gt_i32_e64 s0, 31, v28
	s_delay_alu instid0(VALU_DEP_3) | instskip(NEXT) | instid1(VALU_DEP_3)
	v_and_b32_e32 v24, 7, v13
	v_mul_f16_e32 v25, v107, v15
	s_wait_alu 0xf1ff
	s_delay_alu instid0(VALU_DEP_3)
	v_cndmask_b32_e64 v9, 0x7c00, v9, s0
	v_cmp_ne_u32_e64 s0, 0, v3
	v_lshrrev_b32_e32 v13, 2, v13
	v_cmp_eq_u32_e64 s1, 3, v24
	v_fmac_f16_e32 v25, v104, v8
	v_mul_f16_e32 v8, v107, v8
	s_wait_alu 0xf1ff
	v_cndmask_b32_e64 v3, 0, 1, s0
	v_cmp_eq_u32_e64 s0, 0x40f, v28
	v_cvt_f32_f16_e32 v25, v25
	v_fma_f16 v8, v104, v15, -v8
	s_delay_alu instid0(VALU_DEP_4)
	v_and_or_b32 v3, 0xffe, v26, v3
	s_wait_alu 0xf1ff
	v_cndmask_b32_e64 v6, v9, v6, s0
	v_cmp_lt_i32_e64 s0, 5, v24
	v_cvt_f64_f32_e32 v[24:25], v25
	v_sub_nc_u32_e32 v9, 0x3f1, v27
	v_or_b32_e32 v26, 0x1000, v3
	v_cvt_f32_f16_e32 v8, v8
	s_or_b32 s0, s1, s0
	v_and_or_b32 v6, 0x8000, v12, v6
	s_wait_alu 0xfffe
	v_add_co_ci_u32_e64 v13, s0, 0, v13, s0
	v_med3_i32 v9, v9, 0, 13
	v_cmp_ne_u32_e64 s0, 0, v11
	v_lshrrev_b32_e32 v12, 16, v21
	v_and_b32_e32 v6, 0xffff, v6
	s_delay_alu instid0(VALU_DEP_4) | instskip(SKIP_3) | instid1(VALU_DEP_3)
	v_lshrrev_b32_e32 v28, v9, v26
	s_wait_alu 0xf1ff
	v_cndmask_b32_e64 v11, 0, 1, s0
	v_cmp_gt_i32_e64 s0, 31, v20
	v_lshlrev_b32_e32 v9, v9, v28
	s_delay_alu instid0(VALU_DEP_3) | instskip(SKIP_1) | instid1(VALU_DEP_3)
	v_lshl_or_b32 v11, v11, 9, 0x7c00
	s_wait_alu 0xf1ff
	v_cndmask_b32_e64 v13, 0x7c00, v13, s0
	v_cmp_eq_u32_e64 s0, 0x40f, v20
	v_lshrrev_b32_e32 v20, 8, v23
	s_wait_alu 0xf1ff
	s_delay_alu instid0(VALU_DEP_2)
	v_cndmask_b32_e64 v11, v13, v11, s0
	v_and_or_b32 v13, 0x1ff, v23, v22
	v_cmp_ne_u32_e64 s0, v9, v26
	v_add_nc_u32_e32 v22, 0xfffffc10, v27
	v_cvt_f64_f32_e32 v[8:9], v8
	v_bfe_u32 v26, v23, 20, 11
	v_and_or_b32 v21, 0x8000, v12, v11
	s_wait_alu 0xf1ff
	v_cndmask_b32_e64 v15, 0, 1, s0
	v_cmp_ne_u32_e64 s0, 0, v13
	v_lshl_or_b32 v12, v22, 12, v3
	v_lshrrev_b32_e32 v23, 16, v23
	v_lshl_or_b32 v29, v21, 16, v6
	v_or_b32_e32 v11, v28, v15
	s_wait_alu 0xf1ff
	v_cndmask_b32_e64 v13, 0, 1, s0
	v_cmp_gt_i32_e64 s0, 1, v22
	v_sub_nc_u32_e32 v15, 0x3f1, v26
	v_add_nc_u32_e32 v26, 0xfffffc10, v26
	s_delay_alu instid0(VALU_DEP_4)
	v_and_or_b32 v13, 0xffe, v20, v13
	s_wait_alu 0xf1ff
	v_cndmask_b32_e64 v27, v12, v11, s0
	v_mul_f64_e32 v[11:12], s[8:9], v[24:25]
	v_med3_i32 v15, v15, 0, 13
	v_add_co_u32 v18, s0, v18, s6
	v_or_b32_e32 v28, 0x1000, v13
	s_wait_alu 0xf1ff
	v_add_co_ci_u32_e64 v19, s0, s7, v19, s0
	v_and_b32_e32 v6, 7, v27
	v_add_co_u32 v20, s0, v18, s6
	v_lshrrev_b32_e32 v24, v15, v28
	s_wait_alu 0xf1ff
	v_add_co_ci_u32_e64 v21, s0, s7, v19, s0
	v_cmp_lt_i32_e64 s0, 5, v6
	v_cmp_eq_u32_e64 s1, 3, v6
	v_lshlrev_b32_e32 v15, v15, v24
	v_lshrrev_b32_e32 v25, 2, v27
	v_lshrrev_b32_e32 v6, 16, v5
	global_store_b32 v[18:19], v0, off
	global_store_b32 v[20:21], v29, off
	s_or_b32 s0, s1, s0
	v_cmp_ne_u32_e64 s2, v15, v28
	s_wait_alu 0xfffe
	v_add_co_ci_u32_e64 v25, s0, 0, v25, s0
	v_cmp_ne_u32_e64 s0, 0, v3
	v_mul_f16_e32 v27, v105, v6
	s_wait_alu 0xf1ff
	v_cndmask_b32_e64 v15, 0, 1, s2
	v_mul_f64_e32 v[8:9], s[8:9], v[8:9]
	v_cndmask_b32_e64 v3, 0, 1, s0
	v_cmp_gt_i32_e64 s0, 1, v26
	s_delay_alu instid0(VALU_DEP_4)
	v_or_b32_e32 v15, v24, v15
	v_lshl_or_b32 v24, v26, 12, v13
	v_fmac_f16_e32 v27, v102, v5
	v_lshl_or_b32 v3, v3, 9, 0x7c00
	v_mul_f16_e32 v5, v105, v5
	s_wait_alu 0xf1ff
	v_cndmask_b32_e64 v15, v24, v15, s0
	v_cmp_gt_i32_e64 s0, 31, v22
	v_cvt_f32_f16_e32 v27, v27
	v_and_or_b32 v11, 0x1ff, v12, v11
	v_fma_f16 v5, v102, v6, -v5
	s_wait_alu 0xf1ff
	v_cndmask_b32_e64 v28, 0x7c00, v25, s0
	v_cmp_eq_u32_e64 s0, 0x40f, v22
	v_cvt_f64_f32_e32 v[24:25], v27
	v_and_b32_e32 v27, 7, v15
	v_cmp_ne_u32_e64 s1, 0, v11
	v_lshrrev_b32_e32 v22, 8, v12
	s_wait_alu 0xf1ff
	v_cndmask_b32_e64 v3, v28, v3, s0
	v_cmp_lt_i32_e64 s0, 5, v27
	v_cndmask_b32_e64 v11, 0, 1, s1
	v_cmp_eq_u32_e64 s1, 3, v27
	s_delay_alu instid0(VALU_DEP_4)
	v_and_or_b32 v27, 0x8000, v4, v3
	v_lshrrev_b32_e32 v3, 2, v15
	v_bfe_u32 v15, v12, 20, 11
	v_and_or_b32 v11, 0xffe, v22, v11
	s_or_b32 s0, s1, s0
	s_wait_alu 0xfffe
	v_add_co_ci_u32_e64 v3, s0, 0, v3, s0
	v_cmp_ne_u32_e64 s0, 0, v13
	v_sub_nc_u32_e32 v4, 0x3f1, v15
	v_or_b32_e32 v22, 0x1000, v11
	v_and_or_b32 v6, 0x1ff, v9, v8
	v_lshrrev_b32_e32 v30, 8, v9
	s_wait_alu 0xf1ff
	v_cndmask_b32_e64 v13, 0, 1, s0
	v_cmp_gt_i32_e64 s0, 31, v26
	v_med3_i32 v4, v4, 0, 13
	v_add_nc_u32_e32 v15, 0xfffffc10, v15
	s_delay_alu instid0(VALU_DEP_4)
	v_lshl_or_b32 v13, v13, 9, 0x7c00
	s_wait_alu 0xf1ff
	v_cndmask_b32_e64 v3, 0x7c00, v3, s0
	v_cmp_eq_u32_e64 s0, 0x40f, v26
	v_lshrrev_b32_e32 v28, v4, v22
	v_cmp_eq_u32_e64 s2, 0x40f, v15
	s_wait_alu 0xf1ff
	s_delay_alu instid0(VALU_DEP_3)
	v_cndmask_b32_e64 v8, v3, v13, s0
	v_cvt_f32_f16_e32 v3, v5
	v_lshlrev_b32_e32 v13, v4, v28
	v_cmp_ne_u32_e64 s0, 0, v6
	v_mul_f64_e32 v[5:6], s[8:9], v[24:25]
	v_bfe_u32 v24, v9, 20, 11
	v_cvt_f64_f32_e32 v[3:4], v3
	v_and_or_b32 v8, 0x8000, v23, v8
	s_wait_alu 0xf1ff
	v_cndmask_b32_e64 v26, 0, 1, s0
	v_cmp_ne_u32_e64 s0, v13, v22
	v_sub_nc_u32_e32 v25, 0x3f1, v24
	v_and_b32_e32 v23, 0xffff, v27
	v_lshrrev_b32_e32 v9, 16, v9
	v_and_or_b32 v22, 0xffe, v30, v26
	s_wait_alu 0xf1ff
	v_cndmask_b32_e64 v13, 0, 1, s0
	v_lshl_or_b32 v26, v15, 12, v11
	v_med3_i32 v25, v25, 0, 13
	v_cmp_gt_i32_e64 s0, 1, v15
	v_lshl_or_b32 v0, v8, 16, v23
	v_or_b32_e32 v13, v28, v13
	v_or_b32_e32 v28, 0x1000, v22
	s_wait_alu 0xf1ff
	s_delay_alu instid0(VALU_DEP_2) | instskip(NEXT) | instid1(VALU_DEP_2)
	v_cndmask_b32_e64 v13, v26, v13, s0
	v_lshrrev_b32_e32 v26, v25, v28
	v_add_co_u32 v18, s0, v20, s6
	s_wait_alu 0xf1ff
	v_add_co_ci_u32_e64 v19, s0, s7, v21, s0
	s_delay_alu instid0(VALU_DEP_3)
	v_lshlrev_b32_e32 v23, v25, v26
	v_and_b32_e32 v8, 7, v13
	v_lshrrev_b32_e32 v25, 16, v10
	global_store_b32 v[18:19], v0, off
	v_cmp_ne_u32_e64 s1, v23, v28
	v_cmp_lt_i32_e64 s0, 5, v8
	v_add_nc_u32_e32 v23, 0xfffffc10, v24
	v_mul_f16_e32 v20, v103, v25
	s_wait_alu 0xf1ff
	v_cndmask_b32_e64 v21, 0, 1, s1
	v_cmp_eq_u32_e64 s1, 3, v8
	v_lshrrev_b32_e32 v8, 2, v13
	v_and_or_b32 v5, 0x1ff, v6, v5
	v_mul_f64_e32 v[3:4], s[8:9], v[3:4]
	v_or_b32_e32 v13, v26, v21
	s_or_b32 s0, s1, s0
	v_lshl_or_b32 v21, v23, 12, v22
	s_wait_alu 0xfffe
	v_add_co_ci_u32_e64 v8, s0, 0, v8, s0
	v_cmp_gt_i32_e64 s0, 1, v23
	v_fmac_f16_e32 v20, v100, v10
	v_lshrrev_b32_e32 v24, 8, v6
	v_bfe_u32 v26, v6, 20, 11
	v_mul_f16_e32 v10, v103, v10
	s_wait_alu 0xf1ff
	v_cndmask_b32_e64 v13, v21, v13, s0
	v_cmp_ne_u32_e64 s0, 0, v5
	v_cvt_f32_f16_e32 v20, v20
	v_lshrrev_b32_e32 v6, 16, v6
	v_fma_f16 v10, v100, v25, -v10
	v_and_b32_e32 v27, 7, v13
	s_wait_alu 0xf1ff
	v_cndmask_b32_e64 v5, 0, 1, s0
	v_cvt_f64_f32_e32 v[20:21], v20
	v_cmp_ne_u32_e64 s0, 0, v11
	v_lshrrev_b32_e32 v13, 2, v13
	v_cmp_eq_u32_e64 s1, 3, v27
	v_and_or_b32 v5, 0xffe, v24, v5
	v_sub_nc_u32_e32 v24, 0x3f1, v26
	s_wait_alu 0xf1ff
	v_cndmask_b32_e64 v11, 0, 1, s0
	v_cmp_gt_i32_e64 s0, 31, v15
	v_add_nc_u32_e32 v26, 0xfffffc10, v26
	v_or_b32_e32 v28, 0x1000, v5
	v_med3_i32 v24, v24, 0, 13
	v_lshl_or_b32 v11, v11, 9, 0x7c00
	s_wait_alu 0xf1ff
	v_cndmask_b32_e64 v8, 0x7c00, v8, s0
	v_cmp_lt_i32_e64 s0, 5, v27
	v_lshrrev_b32_e32 v27, 16, v12
	v_lshrrev_b32_e32 v15, v24, v28
	s_delay_alu instid0(VALU_DEP_4) | instskip(NEXT) | instid1(VALU_DEP_4)
	v_cndmask_b32_e64 v8, v8, v11, s2
	s_or_b32 s0, s1, s0
	s_wait_alu 0xfffe
	v_add_co_ci_u32_e64 v11, s0, 0, v13, s0
	v_lshlrev_b32_e32 v12, v24, v15
	v_cmp_gt_i32_e64 s0, 31, v23
	v_and_or_b32 v3, 0x1ff, v4, v3
	v_bfe_u32 v29, v4, 20, 11
	v_and_or_b32 v8, 0x8000, v27, v8
	s_wait_alu 0xf1ff
	v_cndmask_b32_e64 v24, 0x7c00, v11, s0
	v_cmp_ne_u32_e64 s0, v12, v28
	v_cvt_f32_f16_e32 v12, v10
	v_lshrrev_b32_e32 v28, 8, v4
	s_wait_alu 0xf1ff
	s_delay_alu instid0(VALU_DEP_3)
	v_cndmask_b32_e64 v25, 0, 1, s0
	v_cmp_ne_u32_e64 s0, 0, v3
	v_cvt_f64_f32_e32 v[12:13], v12
	v_mul_f64_e32 v[10:11], s[8:9], v[20:21]
	v_sub_nc_u32_e32 v21, 0x3f1, v29
	s_wait_alu 0xf1ff
	v_cndmask_b32_e64 v3, 0, 1, s0
	v_cmp_ne_u32_e64 s0, 0, v22
	v_or_b32_e32 v15, v15, v25
	v_lshl_or_b32 v22, v26, 12, v5
	v_med3_i32 v21, v21, 0, 13
	v_and_or_b32 v3, 0xffe, v28, v3
	s_wait_alu 0xf1ff
	v_cndmask_b32_e64 v20, 0, 1, s0
	v_cmp_gt_i32_e64 s0, 1, v26
	s_delay_alu instid0(VALU_DEP_3) | instskip(NEXT) | instid1(VALU_DEP_3)
	v_or_b32_e32 v25, 0x1000, v3
	v_lshl_or_b32 v20, v20, 9, 0x7c00
	s_wait_alu 0xf1ff
	s_delay_alu instid0(VALU_DEP_3) | instskip(SKIP_2) | instid1(VALU_DEP_3)
	v_cndmask_b32_e64 v15, v22, v15, s0
	v_cmp_eq_u32_e64 s0, 0x40f, v23
	v_lshrrev_b32_e32 v22, v21, v25
	v_and_b32_e32 v23, 7, v15
	s_wait_alu 0xf1ff
	s_delay_alu instid0(VALU_DEP_3) | instskip(NEXT) | instid1(VALU_DEP_2)
	v_cndmask_b32_e64 v20, v24, v20, s0
	v_cmp_lt_i32_e64 s0, 5, v23
	s_delay_alu instid0(VALU_DEP_2)
	v_and_or_b32 v0, 0x8000, v9, v20
	v_lshlrev_b32_e32 v9, v21, v22
	v_cmp_eq_u32_e64 s1, 3, v23
	v_and_b32_e32 v20, 0xffff, v8
	v_lshrrev_b32_e32 v8, 2, v15
	v_add_nc_u32_e32 v15, 0xfffffc10, v29
	v_cmp_ne_u32_e64 s2, v9, v25
	s_or_b32 s0, s1, s0
	v_lshl_or_b32 v0, v0, 16, v20
	s_wait_alu 0xfffe
	v_add_co_ci_u32_e64 v21, s0, 0, v8, s0
	v_cndmask_b32_e64 v9, 0, 1, s2
	v_cmp_ne_u32_e64 s0, 0, v5
	v_and_or_b32 v10, 0x1ff, v11, v10
	v_cmp_eq_u32_e64 s2, 0x40f, v26
	v_lshrrev_b32_e32 v24, 8, v11
	v_or_b32_e32 v8, v22, v9
	v_lshl_or_b32 v9, v15, 12, v3
	s_wait_alu 0xf1ff
	v_cndmask_b32_e64 v5, 0, 1, s0
	v_cmp_gt_i32_e64 s0, 1, v15
	v_lshrrev_b32_e32 v22, 16, v7
	v_bfe_u32 v25, v11, 20, 11
	v_lshrrev_b32_e32 v11, 16, v11
	v_lshl_or_b32 v5, v5, 9, 0x7c00
	s_wait_alu 0xf1ff
	v_cndmask_b32_e64 v23, v9, v8, s0
	v_mul_f64_e32 v[8:9], s[8:9], v[12:13]
	v_mul_f16_e32 v12, v101, v22
	v_cmp_gt_i32_e64 s0, 31, v26
	s_delay_alu instid0(VALU_DEP_4) | instskip(NEXT) | instid1(VALU_DEP_3)
	v_and_b32_e32 v13, 7, v23
	v_fmac_f16_e32 v12, v98, v7
	s_wait_alu 0xf1ff
	s_delay_alu instid0(VALU_DEP_3)
	v_cndmask_b32_e64 v21, 0x7c00, v21, s0
	v_cmp_ne_u32_e64 s0, 0, v10
	v_cmp_eq_u32_e64 s1, 3, v13
	v_mul_f16_e32 v7, v101, v7
	v_cvt_f32_f16_e32 v12, v12
	v_cndmask_b32_e64 v5, v21, v5, s2
	s_wait_alu 0xf1ff
	v_cndmask_b32_e64 v10, 0, 1, s0
	v_cmp_lt_i32_e64 s0, 5, v13
	v_lshrrev_b32_e32 v21, 2, v23
	v_cvt_f64_f32_e32 v[12:13], v12
	v_and_or_b32 v27, 0x8000, v6, v5
	v_and_or_b32 v10, 0xffe, v24, v10
	s_or_b32 s0, s1, s0
	v_sub_nc_u32_e32 v24, 0x3f1, v25
	s_wait_alu 0xfffe
	v_add_co_ci_u32_e64 v21, s0, 0, v21, s0
	v_cmp_ne_u32_e64 s0, 0, v3
	v_or_b32_e32 v23, 0x1000, v10
	v_med3_i32 v24, v24, 0, 13
	v_and_b32_e32 v20, 0xffff, v27
	s_wait_alu 0xf1ff
	v_cndmask_b32_e64 v3, 0, 1, s0
	v_cmp_gt_i32_e64 s0, 31, v15
	v_lshrrev_b32_e32 v26, v24, v23
	s_delay_alu instid0(VALU_DEP_3) | instskip(SKIP_1) | instid1(VALU_DEP_3)
	v_lshl_or_b32 v3, v3, 9, 0x7c00
	s_wait_alu 0xf1ff
	v_cndmask_b32_e64 v21, 0x7c00, v21, s0
	v_cmp_eq_u32_e64 s0, 0x40f, v15
	v_lshlrev_b32_e32 v5, v24, v26
	v_lshrrev_b32_e32 v24, 16, v4
	v_and_or_b32 v6, 0x1ff, v9, v8
	s_wait_alu 0xf1ff
	v_cndmask_b32_e64 v15, v21, v3, s0
	v_fma_f16 v3, v98, v22, -v7
	v_cmp_ne_u32_e64 s0, v5, v23
	v_add_nc_u32_e32 v21, 0xfffffc10, v25
	v_lshrrev_b32_e32 v22, 8, v9
	v_bfe_u32 v23, v9, 20, 11
	v_cvt_f32_f16_e32 v3, v3
	s_wait_alu 0xf1ff
	v_cndmask_b32_e64 v7, 0, 1, s0
	v_cmp_ne_u32_e64 s0, 0, v6
	v_and_or_b32 v15, 0x8000, v24, v15
	v_cvt_f64_f32_e32 v[5:6], v3
	s_delay_alu instid0(VALU_DEP_4)
	v_or_b32_e32 v3, v26, v7
	s_wait_alu 0xf1ff
	v_cndmask_b32_e64 v8, 0, 1, s0
	v_lshl_or_b32 v7, v21, 12, v10
	v_cmp_gt_i32_e64 s0, 1, v21
	v_lshl_or_b32 v15, v15, 16, v20
	v_lshrrev_b32_e32 v20, 16, v2
	v_and_or_b32 v22, 0xffe, v22, v8
	v_sub_nc_u32_e32 v8, 0x3f1, v23
	s_wait_alu 0xf1ff
	v_cndmask_b32_e64 v25, v7, v3, s0
	v_mul_f64_e32 v[3:4], s[8:9], v[12:13]
	v_add_co_u32 v7, s0, v18, s6
	v_or_b32_e32 v12, 0x1000, v22
	v_med3_i32 v13, v8, 0, 13
	v_and_b32_e32 v24, 7, v25
	s_wait_alu 0xf1ff
	v_add_co_ci_u32_e64 v8, s0, s7, v19, s0
	v_lshrrev_b32_e32 v18, 2, v25
	v_lshrrev_b32_e32 v26, v13, v12
	v_cmp_lt_i32_e64 s0, 5, v24
	v_cmp_eq_u32_e64 s1, 3, v24
	v_add_nc_u32_e32 v23, 0xfffffc10, v23
	s_delay_alu instid0(VALU_DEP_4) | instskip(NEXT) | instid1(VALU_DEP_3)
	v_lshlrev_b32_e32 v13, v13, v26
	s_or_b32 s0, s1, s0
	s_delay_alu instid0(VALU_DEP_2)
	v_lshl_or_b32 v19, v23, 12, v22
	s_wait_alu 0xfffe
	v_add_co_ci_u32_e64 v18, s0, 0, v18, s0
	v_cmp_ne_u32_e64 s2, v13, v12
	v_mul_f16_e32 v13, v99, v20
	v_cmp_ne_u32_e64 s0, 0, v10
	s_wait_alu 0xf1ff
	s_delay_alu instid0(VALU_DEP_3) | instskip(NEXT) | instid1(VALU_DEP_3)
	v_cndmask_b32_e64 v12, 0, 1, s2
	v_fmac_f16_e32 v13, v97, v2
	s_delay_alu instid0(VALU_DEP_3) | instskip(SKIP_3) | instid1(VALU_DEP_4)
	v_cndmask_b32_e64 v10, 0, 1, s0
	v_mul_f64_e32 v[5:6], s[8:9], v[5:6]
	v_cmp_gt_i32_e64 s0, 1, v23
	v_or_b32_e32 v12, v26, v12
	v_lshl_or_b32 v10, v10, 9, 0x7c00
	s_wait_alu 0xf1ff
	s_delay_alu instid0(VALU_DEP_2) | instskip(SKIP_3) | instid1(VALU_DEP_4)
	v_cndmask_b32_e64 v24, v19, v12, s0
	v_cvt_f32_f16_e32 v12, v13
	v_cmp_gt_i32_e64 s0, 31, v21
	v_and_or_b32 v3, 0x1ff, v4, v3
	v_and_b32_e32 v26, 7, v24
	s_delay_alu instid0(VALU_DEP_4)
	v_cvt_f64_f32_e32 v[12:13], v12
	s_wait_alu 0xf1ff
	v_cndmask_b32_e64 v25, 0x7c00, v18, s0
	v_add_co_u32 v18, s0, v7, s6
	s_wait_alu 0xf1ff
	v_add_co_ci_u32_e64 v19, s0, s7, v8, s0
	v_cmp_eq_u32_e64 s0, 0x40f, v21
	v_cmp_ne_u32_e64 s1, 0, v3
	v_lshrrev_b32_e32 v24, 2, v24
	v_lshrrev_b32_e32 v21, 8, v4
	global_store_b32 v[7:8], v0, off
	global_store_b32 v[18:19], v15, off
	s_wait_alu 0xf1ff
	v_cndmask_b32_e64 v10, v25, v10, s0
	v_cmp_lt_i32_e64 s0, 5, v26
	v_cndmask_b32_e64 v3, 0, 1, s1
	v_cmp_eq_u32_e64 s1, 3, v26
	v_bfe_u32 v25, v4, 20, 11
	v_and_or_b32 v11, 0x8000, v11, v10
	v_lshrrev_b32_e32 v4, 16, v4
	v_and_or_b32 v21, 0xffe, v21, v3
	s_or_b32 s0, s1, s0
	v_sub_nc_u32_e32 v3, 0x3f1, v25
	s_wait_alu 0xfffe
	v_add_co_ci_u32_e64 v24, s0, 0, v24, s0
	v_cmp_ne_u32_e64 s0, 0, v22
	v_or_b32_e32 v26, 0x1000, v21
	v_med3_i32 v3, v3, 0, 13
	v_and_or_b32 v5, 0x1ff, v6, v5
	v_lshrrev_b32_e32 v27, 8, v6
	s_wait_alu 0xf1ff
	v_cndmask_b32_e64 v22, 0, 1, s0
	v_cmp_gt_i32_e64 s0, 31, v23
	v_lshrrev_b32_e32 v10, v3, v26
	v_bfe_u32 v28, v6, 20, 11
	v_and_b32_e32 v11, 0xffff, v11
	v_lshl_or_b32 v22, v22, 9, 0x7c00
	s_wait_alu 0xf1ff
	v_cndmask_b32_e64 v24, 0x7c00, v24, s0
	v_cmp_eq_u32_e64 s0, 0x40f, v23
	v_lshrrev_b32_e32 v23, 16, v9
	v_lshlrev_b32_e32 v9, v3, v10
	v_lshrrev_b32_e32 v6, 16, v6
	s_wait_alu 0xf1ff
	v_cndmask_b32_e64 v22, v24, v22, s0
	v_mul_f16_e32 v24, v99, v2
	v_cmp_ne_u32_e64 s0, 0, v5
	v_mul_f64_e32 v[2:3], s[8:9], v[12:13]
	v_add_nc_u32_e32 v13, 0xfffffc10, v25
	s_delay_alu instid0(VALU_DEP_4)
	v_fma_f16 v12, v97, v20, -v24
	s_wait_alu 0xf1ff
	v_cndmask_b32_e64 v5, 0, 1, s0
	v_cmp_ne_u32_e64 s0, v9, v26
	v_sub_nc_u32_e32 v20, 0x3f1, v28
	v_lshl_or_b32 v25, v13, 12, v21
	v_cvt_f32_f16_e32 v12, v12
	v_and_or_b32 v5, 0xffe, v27, v5
	s_wait_alu 0xf1ff
	v_cndmask_b32_e64 v9, 0, 1, s0
	v_cmp_gt_i32_e64 s0, 1, v13
	v_cmp_eq_u32_e64 s2, 0x40f, v13
	v_or_b32_e32 v26, 0x1000, v5
	s_delay_alu instid0(VALU_DEP_4)
	v_or_b32_e32 v24, v10, v9
	v_cvt_f64_f32_e32 v[9:10], v12
	v_med3_i32 v12, v20, 0, 13
	v_and_or_b32 v20, 0x8000, v23, v22
	s_wait_alu 0xf1ff
	v_cndmask_b32_e64 v22, v25, v24, s0
	v_add_co_u32 v7, s0, v18, s6
	v_lshrrev_b32_e32 v23, v12, v26
	v_lshl_or_b32 v15, v20, 16, v11
	s_delay_alu instid0(VALU_DEP_4)
	v_and_b32_e32 v0, 7, v22
	s_wait_alu 0xf1ff
	v_add_co_ci_u32_e64 v8, s0, s7, v19, s0
	v_lshlrev_b32_e32 v11, v12, v23
	v_lshrrev_b32_e32 v18, 16, v1
	v_cmp_lt_i32_e64 s0, 5, v0
	v_add_nc_u32_e32 v19, 0xfffffc10, v28
	s_delay_alu instid0(VALU_DEP_4) | instskip(NEXT) | instid1(VALU_DEP_4)
	v_cmp_ne_u32_e64 s1, v11, v26
	v_mul_f16_e32 v12, v96, v18
	s_delay_alu instid0(VALU_DEP_3) | instskip(SKIP_1) | instid1(VALU_DEP_3)
	v_lshl_or_b32 v20, v19, 12, v5
	s_wait_alu 0xf1ff
	v_cndmask_b32_e64 v11, 0, 1, s1
	v_cmp_eq_u32_e64 s1, 3, v0
	v_lshrrev_b32_e32 v0, 2, v22
	v_and_or_b32 v2, 0x1ff, v3, v2
	v_fmac_f16_e32 v12, v94, v1
	v_or_b32_e32 v11, v23, v11
	s_or_b32 s0, s1, s0
	v_lshrrev_b32_e32 v22, 8, v3
	s_wait_alu 0xfffe
	v_add_co_ci_u32_e64 v0, s0, 0, v0, s0
	v_cmp_gt_i32_e64 s0, 1, v19
	v_cvt_f32_f16_e32 v12, v12
	v_bfe_u32 v23, v3, 20, 11
	s_wait_alu 0xf1ff
	s_delay_alu instid0(VALU_DEP_3) | instskip(SKIP_3) | instid1(VALU_DEP_4)
	v_cndmask_b32_e64 v20, v20, v11, s0
	v_cmp_ne_u32_e64 s0, 0, v2
	v_cvt_f64_f32_e32 v[11:12], v12
	v_mul_f64_e32 v[9:10], s[8:9], v[9:10]
	v_and_b32_e32 v24, 7, v20
	s_wait_alu 0xf1ff
	v_cndmask_b32_e64 v2, 0, 1, s0
	v_cmp_ne_u32_e64 s0, 0, v21
	v_lshrrev_b32_e32 v20, 2, v20
	v_cmp_eq_u32_e64 s1, 3, v24
	s_delay_alu instid0(VALU_DEP_4)
	v_and_or_b32 v2, 0xffe, v22, v2
	s_wait_alu 0xf1ff
	v_cndmask_b32_e64 v21, 0, 1, s0
	v_cmp_gt_i32_e64 s0, 31, v13
	v_sub_nc_u32_e32 v22, 0x3f1, v23
	v_add_nc_u32_e32 v23, 0xfffffc10, v23
	v_or_b32_e32 v25, 0x1000, v2
	v_lshl_or_b32 v21, v21, 9, 0x7c00
	s_wait_alu 0xf1ff
	v_cndmask_b32_e64 v0, 0x7c00, v0, s0
	v_cmp_lt_i32_e64 s0, 5, v24
	v_med3_i32 v22, v22, 0, 13
	s_delay_alu instid0(VALU_DEP_3) | instskip(NEXT) | instid1(VALU_DEP_3)
	v_cndmask_b32_e64 v0, v0, v21, s2
	s_or_b32 s0, s1, s0
	s_delay_alu instid0(VALU_DEP_2) | instskip(SKIP_3) | instid1(VALU_DEP_3)
	v_lshrrev_b32_e32 v13, v22, v25
	s_wait_alu 0xfffe
	v_add_co_ci_u32_e64 v20, s0, 0, v20, s0
	v_cmp_ne_u32_e64 s0, 0, v5
	v_lshlrev_b32_e32 v21, v22, v13
	v_and_or_b32 v22, 0x8000, v4, v0
	s_wait_alu 0xf1ff
	s_delay_alu instid0(VALU_DEP_3) | instskip(SKIP_1) | instid1(VALU_DEP_2)
	v_cndmask_b32_e64 v5, 0, 1, s0
	v_cmp_gt_i32_e64 s0, 31, v19
	v_lshl_or_b32 v5, v5, 9, 0x7c00
	s_wait_alu 0xf1ff
	s_delay_alu instid0(VALU_DEP_2) | instskip(SKIP_3) | instid1(VALU_DEP_2)
	v_cndmask_b32_e64 v20, 0x7c00, v20, s0
	v_cmp_ne_u32_e64 s0, v21, v25
	v_and_or_b32 v9, 0x1ff, v10, v9
	s_wait_alu 0xf1ff
	v_cndmask_b32_e64 v21, 0, 1, s0
	v_cmp_eq_u32_e64 s0, 0x40f, v19
	v_lshrrev_b32_e32 v19, 16, v14
	s_wait_alu 0xf1ff
	s_delay_alu instid0(VALU_DEP_2)
	v_cndmask_b32_e64 v4, v20, v5, s0
	v_or_b32_e32 v5, v13, v21
	v_mul_f16_e32 v13, v96, v1
	v_mul_f64_e32 v[0:1], s[8:9], v[11:12]
	v_lshl_or_b32 v11, v23, 12, v2
	v_cmp_gt_i32_e64 s0, 1, v23
	v_and_or_b32 v6, 0x8000, v6, v4
	v_fma_f16 v12, v94, v18, -v13
	v_bfe_u32 v13, v10, 20, 11
	v_and_b32_e32 v20, 0xffff, v22
	s_wait_alu 0xf1ff
	v_cndmask_b32_e64 v11, v11, v5, s0
	v_cmp_ne_u32_e64 s0, 0, v9
	v_cvt_f32_f16_e32 v5, v12
	v_lshrrev_b32_e32 v12, 8, v10
	v_mul_f16_e32 v22, v95, v19
	v_and_b32_e32 v18, 7, v11
	s_wait_alu 0xf1ff
	v_cndmask_b32_e64 v9, 0, 1, s0
	v_cvt_f64_f32_e32 v[4:5], v5
	v_lshrrev_b32_e32 v11, 2, v11
	v_fmac_f16_e32 v22, v93, v14
	v_cmp_lt_i32_e64 s0, 5, v18
	v_and_or_b32 v9, 0xffe, v12, v9
	v_sub_nc_u32_e32 v12, 0x3f1, v13
	v_cmp_eq_u32_e64 s1, 3, v18
	v_lshl_or_b32 v6, v6, 16, v20
	s_delay_alu instid0(VALU_DEP_4) | instskip(NEXT) | instid1(VALU_DEP_4)
	v_or_b32_e32 v21, 0x1000, v9
	v_med3_i32 v12, v12, 0, 13
	s_delay_alu instid0(VALU_DEP_4) | instskip(SKIP_2) | instid1(VALU_DEP_2)
	s_or_b32 s0, s1, s0
	s_wait_alu 0xfffe
	v_add_co_ci_u32_e64 v11, s0, 0, v11, s0
	v_lshrrev_b32_e32 v18, v12, v21
	v_cmp_ne_u32_e64 s0, 0, v2
	s_delay_alu instid0(VALU_DEP_2) | instskip(SKIP_1) | instid1(VALU_DEP_2)
	v_lshlrev_b32_e32 v20, v12, v18
	s_wait_alu 0xf1ff
	v_cndmask_b32_e64 v2, 0, 1, s0
	v_cvt_f32_f16_e32 v12, v22
	v_cmp_gt_i32_e64 s0, 31, v23
	v_and_or_b32 v0, 0x1ff, v1, v0
	s_delay_alu instid0(VALU_DEP_4) | instskip(SKIP_1) | instid1(VALU_DEP_3)
	v_lshl_or_b32 v2, v2, 9, 0x7c00
	s_wait_alu 0xf1ff
	v_cndmask_b32_e64 v22, 0x7c00, v11, s0
	v_cvt_f64_f32_e32 v[11:12], v12
	v_cmp_ne_u32_e64 s0, v20, v21
	v_add_nc_u32_e32 v21, 0xfffffc10, v13
	v_mul_f16_e32 v13, v95, v14
	v_lshrrev_b32_e32 v14, 8, v1
	s_wait_alu 0xf1ff
	v_cndmask_b32_e64 v20, 0, 1, s0
	v_cmp_ne_u32_e64 s0, 0, v0
	v_fma_f16 v13, v93, v19, -v13
	v_lshl_or_b32 v19, v21, 12, v9
	v_mul_f64_e32 v[4:5], s[8:9], v[4:5]
	v_or_b32_e32 v18, v18, v20
	s_wait_alu 0xf1ff
	v_cndmask_b32_e64 v0, 0, 1, s0
	v_bfe_u32 v20, v1, 20, 11
	v_cmp_gt_i32_e64 s0, 1, v21
	v_cvt_f32_f16_e32 v13, v13
	v_lshrrev_b32_e32 v1, 16, v1
	v_and_or_b32 v0, 0xffe, v14, v0
	v_sub_nc_u32_e32 v14, 0x3f1, v20
	s_wait_alu 0xf1ff
	v_cndmask_b32_e64 v18, v19, v18, s0
	v_cmp_eq_u32_e64 s0, 0x40f, v23
	v_lshrrev_b32_e32 v23, 16, v3
	v_or_b32_e32 v19, 0x1000, v0
	v_med3_i32 v24, v14, 0, 13
	v_cvt_f64_f32_e32 v[13:14], v13
	v_and_b32_e32 v25, 7, v18
	s_wait_alu 0xf1ff
	v_cndmask_b32_e64 v22, v22, v2, s0
	v_add_co_u32 v2, s0, v7, s6
	v_lshrrev_b32_e32 v26, v24, v19
	s_wait_alu 0xf1ff
	v_add_co_ci_u32_e64 v3, s0, s7, v8, s0
	v_cmp_lt_i32_e64 s0, 5, v25
	v_cmp_eq_u32_e64 s1, 3, v25
	v_lshrrev_b32_e32 v18, 2, v18
	v_lshlrev_b32_e32 v24, v24, v26
	v_add_nc_u32_e32 v20, 0xfffffc10, v20
	v_and_or_b32 v22, 0x8000, v23, v22
	s_or_b32 s0, s1, s0
	v_mul_f64_e32 v[11:12], s[8:9], v[11:12]
	s_wait_alu 0xfffe
	v_add_co_ci_u32_e64 v18, s0, 0, v18, s0
	v_cmp_ne_u32_e64 s2, v24, v19
	v_cmp_ne_u32_e64 s0, 0, v9
	v_lshl_or_b32 v23, v20, 12, v0
	s_wait_alu 0xf1ff
	s_delay_alu instid0(VALU_DEP_3) | instskip(NEXT) | instid1(VALU_DEP_3)
	v_cndmask_b32_e64 v19, 0, 1, s2
	v_cndmask_b32_e64 v9, 0, 1, s0
	v_cmp_gt_i32_e64 s0, 31, v21
	v_and_or_b32 v4, 0x1ff, v5, v4
	v_lshrrev_b32_e32 v24, 8, v5
	v_or_b32_e32 v19, v26, v19
	v_lshl_or_b32 v9, v9, 9, 0x7c00
	s_wait_alu 0xf1ff
	v_cndmask_b32_e64 v18, 0x7c00, v18, s0
	v_cmp_gt_i32_e64 s0, 1, v20
	s_wait_alu 0xf1ff
	s_delay_alu instid0(VALU_DEP_1) | instskip(SKIP_2) | instid1(VALU_DEP_3)
	v_cndmask_b32_e64 v19, v23, v19, s0
	v_cmp_eq_u32_e64 s0, 0x40f, v21
	v_lshrrev_b32_e32 v21, 16, v10
	v_and_b32_e32 v23, 7, v19
	s_wait_alu 0xf1ff
	s_delay_alu instid0(VALU_DEP_3)
	v_cndmask_b32_e64 v18, v18, v9, s0
	v_cmp_ne_u32_e64 s0, 0, v4
	v_mul_f64_e32 v[9:10], s[8:9], v[13:14]
	v_bfe_u32 v13, v5, 20, 11
	v_cmp_eq_u32_e64 s1, 3, v23
	v_and_or_b32 v14, 0x8000, v21, v18
	v_and_b32_e32 v18, 0xffff, v22
	s_wait_alu 0xf1ff
	v_cndmask_b32_e64 v4, 0, 1, s0
	v_cmp_lt_i32_e64 s0, 5, v23
	v_sub_nc_u32_e32 v21, 0x3f1, v13
	v_add_nc_u32_e32 v13, 0xfffffc10, v13
	v_lshl_or_b32 v14, v14, 16, v18
	v_lshrrev_b32_e32 v18, 2, v19
	v_and_or_b32 v4, 0xffe, v24, v4
	s_or_b32 s0, s1, s0
	v_med3_i32 v21, v21, 0, 13
	v_and_or_b32 v11, 0x1ff, v12, v11
	s_wait_alu 0xfffe
	v_add_co_ci_u32_e64 v18, s0, 0, v18, s0
	v_or_b32_e32 v19, 0x1000, v4
	v_cmp_ne_u32_e64 s0, 0, v0
	v_lshrrev_b32_e32 v23, 8, v12
	v_bfe_u32 v24, v12, 20, 11
	v_lshrrev_b32_e32 v5, 16, v5
	v_lshrrev_b32_e32 v22, v21, v19
	s_wait_alu 0xf1ff
	v_cndmask_b32_e64 v0, 0, 1, s0
	v_cmp_gt_i32_e64 s0, 31, v20
	v_lshrrev_b32_e32 v12, 16, v12
	v_lshlrev_b32_e32 v21, v21, v22
	s_delay_alu instid0(VALU_DEP_4) | instskip(SKIP_4) | instid1(VALU_DEP_1)
	v_lshl_or_b32 v0, v0, 9, 0x7c00
	s_wait_alu 0xf1ff
	v_cndmask_b32_e64 v18, 0x7c00, v18, s0
	v_cmp_ne_u32_e64 s0, 0, v11
	s_wait_alu 0xf1ff
	v_cndmask_b32_e64 v11, 0, 1, s0
	v_cmp_ne_u32_e64 s0, v21, v19
	v_sub_nc_u32_e32 v21, 0x3f1, v24
	v_and_or_b32 v9, 0x1ff, v10, v9
	s_delay_alu instid0(VALU_DEP_4)
	v_and_or_b32 v11, 0xffe, v23, v11
	s_wait_alu 0xf1ff
	v_cndmask_b32_e64 v19, 0, 1, s0
	v_cmp_eq_u32_e64 s0, 0x40f, v20
	v_med3_i32 v21, v21, 0, 13
	v_bfe_u32 v23, v10, 20, 11
	v_or_b32_e32 v20, 0x1000, v11
	s_wait_alu 0xf1ff
	v_cndmask_b32_e64 v0, v18, v0, s0
	v_or_b32_e32 v18, v22, v19
	v_lshl_or_b32 v19, v13, 12, v4
	v_cmp_gt_i32_e64 s0, 1, v13
	v_lshrrev_b32_e32 v22, 8, v10
	v_and_or_b32 v0, 0x8000, v1, v0
	s_wait_alu 0xf1ff
	s_delay_alu instid0(VALU_DEP_3) | instskip(SKIP_3) | instid1(VALU_DEP_4)
	v_cndmask_b32_e64 v18, v19, v18, s0
	v_lshrrev_b32_e32 v19, v21, v20
	v_cmp_ne_u32_e64 s0, 0, v9
	v_and_b32_e32 v0, 0xffff, v0
	v_and_b32_e32 v25, 7, v18
	s_delay_alu instid0(VALU_DEP_4)
	v_lshlrev_b32_e32 v21, v21, v19
	s_wait_alu 0xf1ff
	v_cndmask_b32_e64 v9, 0, 1, s0
	v_lshrrev_b32_e32 v18, 2, v18
	v_cmp_lt_i32_e64 s0, 5, v25
	v_cmp_ne_u32_e64 s1, v21, v20
	s_delay_alu instid0(VALU_DEP_4)
	v_and_or_b32 v1, 0xffe, v22, v9
	v_sub_nc_u32_e32 v9, 0x3f1, v23
	v_add_nc_u32_e32 v22, 0xfffffc10, v24
	s_wait_alu 0xf1ff
	v_cndmask_b32_e64 v20, 0, 1, s1
	v_cmp_eq_u32_e64 s1, 3, v25
	v_or_b32_e32 v21, 0x1000, v1
	v_med3_i32 v9, v9, 0, 13
	v_lshl_or_b32 v24, v22, 12, v11
	v_or_b32_e32 v19, v19, v20
	s_or_b32 s0, s1, s0
	s_wait_alu 0xfffe
	v_add_co_ci_u32_e64 v18, s0, 0, v18, s0
	v_lshrrev_b32_e32 v20, v9, v21
	v_cmp_gt_i32_e64 s0, 1, v22
	s_delay_alu instid0(VALU_DEP_2) | instskip(SKIP_1) | instid1(VALU_DEP_2)
	v_lshlrev_b32_e32 v9, v9, v20
	s_wait_alu 0xf1ff
	v_cndmask_b32_e64 v19, v24, v19, s0
	v_cmp_ne_u32_e64 s0, 0, v4
	s_wait_alu 0xf1ff
	s_delay_alu instid0(VALU_DEP_1) | instskip(SKIP_3) | instid1(VALU_DEP_4)
	v_cndmask_b32_e64 v4, 0, 1, s0
	v_cmp_ne_u32_e64 s0, v9, v21
	v_add_nc_u32_e32 v21, 0xfffffc10, v23
	v_and_b32_e32 v23, 7, v19
	v_lshl_or_b32 v4, v4, 9, 0x7c00
	s_wait_alu 0xf1ff
	v_cndmask_b32_e64 v9, 0, 1, s0
	v_cmp_gt_i32_e64 s0, 31, v13
	v_cmp_gt_i32_e64 s2, 1, v21
	v_cmp_eq_u32_e64 s1, 3, v23
	s_delay_alu instid0(VALU_DEP_4) | instskip(SKIP_4) | instid1(VALU_DEP_3)
	v_or_b32_e32 v9, v20, v9
	v_lshl_or_b32 v20, v21, 12, v1
	s_wait_alu 0xf1ff
	v_cndmask_b32_e64 v18, 0x7c00, v18, s0
	v_cmp_lt_i32_e64 s0, 5, v23
	v_cndmask_b32_e64 v9, v20, v9, s2
	v_cmp_eq_u32_e64 s2, 0x40f, v13
	v_lshrrev_b32_e32 v13, 2, v19
	s_delay_alu instid0(VALU_DEP_4) | instskip(NEXT) | instid1(VALU_DEP_2)
	s_or_b32 s0, s1, s0
	v_cndmask_b32_e64 v4, v18, v4, s2
	s_wait_alu 0xfffe
	s_delay_alu instid0(VALU_DEP_2) | instskip(SKIP_4) | instid1(VALU_DEP_4)
	v_add_co_ci_u32_e64 v13, s0, 0, v13, s0
	v_and_b32_e32 v18, 7, v9
	v_cmp_ne_u32_e64 s0, 0, v11
	v_lshrrev_b32_e32 v9, 2, v9
	v_cmp_gt_i32_e64 s2, 31, v22
	v_cmp_eq_u32_e64 s1, 3, v18
	s_wait_alu 0xf1ff
	v_cndmask_b32_e64 v11, 0, 1, s0
	v_cmp_lt_i32_e64 s0, 5, v18
	v_cndmask_b32_e64 v13, 0x7c00, v13, s2
	s_delay_alu instid0(VALU_DEP_3) | instskip(NEXT) | instid1(VALU_DEP_3)
	v_lshl_or_b32 v11, v11, 9, 0x7c00
	s_or_b32 s0, s1, s0
	s_wait_alu 0xfffe
	v_add_co_ci_u32_e64 v9, s0, 0, v9, s0
	v_cmp_ne_u32_e64 s0, 0, v1
	s_wait_alu 0xf1ff
	s_delay_alu instid0(VALU_DEP_1) | instskip(SKIP_1) | instid1(VALU_DEP_2)
	v_cndmask_b32_e64 v1, 0, 1, s0
	v_cmp_eq_u32_e64 s0, 0x40f, v22
	v_lshl_or_b32 v1, v1, 9, 0x7c00
	s_wait_alu 0xf1ff
	s_delay_alu instid0(VALU_DEP_2) | instskip(SKIP_2) | instid1(VALU_DEP_3)
	v_cndmask_b32_e64 v11, v13, v11, s0
	v_cmp_gt_i32_e64 s0, 31, v21
	v_and_or_b32 v13, 0x8000, v5, v4
	v_and_or_b32 v11, 0x8000, v12, v11
	s_wait_alu 0xf1ff
	s_delay_alu instid0(VALU_DEP_3) | instskip(SKIP_3) | instid1(VALU_DEP_2)
	v_cndmask_b32_e64 v9, 0x7c00, v9, s0
	v_cmp_eq_u32_e64 s0, 0x40f, v21
	v_lshl_or_b32 v12, v13, 16, v0
	s_wait_alu 0xf1ff
	v_cndmask_b32_e64 v1, v9, v1, s0
	v_lshrrev_b32_e32 v9, 16, v10
	v_add_co_u32 v4, s0, v2, s6
	s_wait_alu 0xf1ff
	v_add_co_ci_u32_e64 v5, s0, s7, v3, s0
	s_delay_alu instid0(VALU_DEP_3) | instskip(SKIP_4) | instid1(VALU_DEP_3)
	v_and_or_b32 v0, 0x8000, v9, v1
	v_and_b32_e32 v1, 0xffff, v11
	v_add_co_u32 v9, s0, v4, s6
	s_wait_alu 0xf1ff
	v_add_co_ci_u32_e64 v10, s0, s7, v5, s0
	v_lshl_or_b32 v11, v0, 16, v1
	s_delay_alu instid0(VALU_DEP_3) | instskip(SKIP_1) | instid1(VALU_DEP_3)
	v_add_co_u32 v0, s0, v9, s6
	s_wait_alu 0xf1ff
	v_add_co_ci_u32_e64 v1, s0, s7, v10, s0
	global_store_b32 v[7:8], v15, off
	global_store_b32 v[2:3], v6, off
	;; [unrolled: 1-line block ×5, first 2 shown]
	s_and_b32 exec_lo, exec_lo, vcc_lo
	s_cbranch_execz .LBB0_15
; %bb.14:
	global_load_b32 v4, v[56:57], off offset:440
	ds_load_2addr_b32 v[2:3], v91 offset0:110 offset1:235
	s_wait_dscnt 0x0
	v_lshrrev_b32_e32 v5, 16, v2
	s_wait_loadcnt 0x0
	v_lshrrev_b32_e32 v6, 16, v4
	s_delay_alu instid0(VALU_DEP_1) | instskip(SKIP_1) | instid1(VALU_DEP_2)
	v_mul_f16_e32 v7, v5, v6
	v_mul_f16_e32 v6, v2, v6
	v_fmac_f16_e32 v7, v2, v4
	s_delay_alu instid0(VALU_DEP_2) | instskip(NEXT) | instid1(VALU_DEP_2)
	v_fma_f16 v2, v4, v5, -v6
	v_cvt_f32_f16_e32 v4, v7
	s_delay_alu instid0(VALU_DEP_2) | instskip(NEXT) | instid1(VALU_DEP_2)
	v_cvt_f32_f16_e32 v2, v2
	v_cvt_f64_f32_e32 v[4:5], v4
	s_delay_alu instid0(VALU_DEP_2) | instskip(NEXT) | instid1(VALU_DEP_2)
	v_cvt_f64_f32_e32 v[6:7], v2
	v_mul_f64_e32 v[4:5], s[8:9], v[4:5]
	s_delay_alu instid0(VALU_DEP_2) | instskip(NEXT) | instid1(VALU_DEP_2)
	v_mul_f64_e32 v[6:7], s[8:9], v[6:7]
	v_and_or_b32 v2, 0x1ff, v5, v4
	s_delay_alu instid0(VALU_DEP_2)
	v_and_or_b32 v6, 0x1ff, v7, v6
	v_lshrrev_b32_e32 v4, 8, v5
	v_bfe_u32 v8, v5, 20, 11
	v_lshrrev_b32_e32 v9, 8, v7
	v_cmp_ne_u32_e32 vcc_lo, 0, v2
	v_bfe_u32 v10, v7, 20, 11
	v_lshrrev_b32_e32 v5, 16, v5
	v_sub_nc_u32_e32 v11, 0x3f1, v8
	v_add_nc_u32_e32 v8, 0xfffffc10, v8
	s_wait_alu 0xfffd
	v_cndmask_b32_e64 v2, 0, 1, vcc_lo
	v_cmp_ne_u32_e32 vcc_lo, 0, v6
	v_lshrrev_b32_e32 v7, 16, v7
	s_delay_alu instid0(VALU_DEP_3) | instskip(SKIP_4) | instid1(VALU_DEP_3)
	v_and_or_b32 v2, 0xffe, v4, v2
	s_wait_alu 0xfffd
	v_cndmask_b32_e64 v6, 0, 1, vcc_lo
	v_sub_nc_u32_e32 v4, 0x3f1, v10
	v_add_nc_u32_e32 v10, 0xfffffc10, v10
	v_and_or_b32 v6, 0xffe, v9, v6
	v_med3_i32 v9, v11, 0, 13
	v_or_b32_e32 v11, 0x1000, v2
	v_med3_i32 v4, v4, 0, 13
	s_delay_alu instid0(VALU_DEP_4) | instskip(NEXT) | instid1(VALU_DEP_3)
	v_or_b32_e32 v12, 0x1000, v6
	v_lshrrev_b32_e32 v13, v9, v11
	s_delay_alu instid0(VALU_DEP_2) | instskip(NEXT) | instid1(VALU_DEP_2)
	v_lshrrev_b32_e32 v14, v4, v12
	v_lshlrev_b32_e32 v9, v9, v13
	s_delay_alu instid0(VALU_DEP_1) | instskip(SKIP_3) | instid1(VALU_DEP_1)
	v_cmp_ne_u32_e32 vcc_lo, v9, v11
	v_lshl_or_b32 v11, v8, 12, v2
	s_wait_alu 0xfffd
	v_cndmask_b32_e64 v9, 0, 1, vcc_lo
	v_or_b32_e32 v9, v13, v9
	v_lshlrev_b32_e32 v4, v4, v14
	s_delay_alu instid0(VALU_DEP_1) | instskip(SKIP_4) | instid1(VALU_DEP_2)
	v_cmp_ne_u32_e32 vcc_lo, v4, v12
	v_lshl_or_b32 v12, v10, 12, v6
	s_wait_alu 0xfffd
	v_cndmask_b32_e64 v4, 0, 1, vcc_lo
	v_cmp_gt_i32_e32 vcc_lo, 1, v8
	v_or_b32_e32 v4, v14, v4
	s_wait_alu 0xfffd
	v_cndmask_b32_e32 v9, v11, v9, vcc_lo
	v_cmp_gt_i32_e32 vcc_lo, 1, v10
	s_wait_alu 0xfffd
	s_delay_alu instid0(VALU_DEP_2) | instskip(SKIP_2) | instid1(VALU_DEP_3)
	v_dual_cndmask_b32 v4, v12, v4 :: v_dual_and_b32 v11, 7, v9
	v_cmp_ne_u32_e32 vcc_lo, 0, v2
	v_lshrrev_b32_e32 v9, 2, v9
	v_cmp_eq_u32_e64 s0, 3, v11
	s_wait_alu 0xfffd
	v_cndmask_b32_e64 v2, 0, 1, vcc_lo
	v_cmp_ne_u32_e32 vcc_lo, 0, v6
	s_delay_alu instid0(VALU_DEP_2) | instskip(SKIP_3) | instid1(VALU_DEP_2)
	v_lshl_or_b32 v2, v2, 9, 0x7c00
	s_wait_alu 0xfffd
	v_cndmask_b32_e64 v6, 0, 1, vcc_lo
	v_cmp_lt_i32_e32 vcc_lo, 5, v11
	v_lshl_or_b32 v6, v6, 9, 0x7c00
	s_or_b32 vcc_lo, s0, vcc_lo
	s_wait_alu 0xfffe
	v_add_co_ci_u32_e32 v9, vcc_lo, 0, v9, vcc_lo
	v_and_b32_e32 v12, 7, v4
	v_lshrrev_b32_e32 v4, 2, v4
	s_delay_alu instid0(VALU_DEP_2) | instskip(SKIP_1) | instid1(VALU_DEP_1)
	v_cmp_lt_i32_e64 s1, 5, v12
	v_cmp_eq_u32_e64 s2, 3, v12
	s_or_b32 vcc_lo, s2, s1
	s_wait_alu 0xfffe
	v_add_co_ci_u32_e32 v4, vcc_lo, 0, v4, vcc_lo
	v_cmp_gt_i32_e32 vcc_lo, 31, v8
	s_wait_alu 0xfffd
	v_cndmask_b32_e32 v9, 0x7c00, v9, vcc_lo
	v_cmp_gt_i32_e32 vcc_lo, 31, v10
	s_wait_alu 0xfffd
	v_cndmask_b32_e32 v4, 0x7c00, v4, vcc_lo
	v_cmp_eq_u32_e32 vcc_lo, 0x40f, v8
	s_wait_alu 0xfffd
	v_cndmask_b32_e32 v2, v9, v2, vcc_lo
	v_cmp_eq_u32_e32 vcc_lo, 0x40f, v10
	s_delay_alu instid0(VALU_DEP_2)
	v_and_or_b32 v2, 0x8000, v5, v2
	s_wait_alu 0xfffd
	v_cndmask_b32_e32 v4, v4, v6, vcc_lo
	v_add_co_u32 v0, vcc_lo, v0, s10
	s_wait_alu 0xfffd
	v_add_co_ci_u32_e32 v1, vcc_lo, s11, v1, vcc_lo
	s_delay_alu instid0(VALU_DEP_3) | instskip(SKIP_1) | instid1(VALU_DEP_1)
	v_and_or_b32 v4, 0x8000, v7, v4
	v_and_b32_e32 v2, 0xffff, v2
	v_lshl_or_b32 v2, v4, 16, v2
	v_lshrrev_b32_e32 v4, 16, v3
	global_store_b32 v[0:1], v2, off
	global_load_b32 v2, v[56:57], off offset:940
	s_wait_loadcnt 0x0
	v_lshrrev_b32_e32 v5, 16, v2
	s_delay_alu instid0(VALU_DEP_1) | instskip(SKIP_1) | instid1(VALU_DEP_2)
	v_mul_f16_e32 v6, v4, v5
	v_mul_f16_e32 v5, v3, v5
	v_fmac_f16_e32 v6, v3, v2
	s_delay_alu instid0(VALU_DEP_2) | instskip(NEXT) | instid1(VALU_DEP_2)
	v_fma_f16 v2, v2, v4, -v5
	v_cvt_f32_f16_e32 v3, v6
	s_delay_alu instid0(VALU_DEP_2) | instskip(NEXT) | instid1(VALU_DEP_2)
	v_cvt_f32_f16_e32 v4, v2
	v_cvt_f64_f32_e32 v[2:3], v3
	s_delay_alu instid0(VALU_DEP_2) | instskip(NEXT) | instid1(VALU_DEP_2)
	v_cvt_f64_f32_e32 v[4:5], v4
	v_mul_f64_e32 v[2:3], s[8:9], v[2:3]
	s_delay_alu instid0(VALU_DEP_2) | instskip(NEXT) | instid1(VALU_DEP_2)
	v_mul_f64_e32 v[4:5], s[8:9], v[4:5]
	v_and_or_b32 v2, 0x1ff, v3, v2
	s_delay_alu instid0(VALU_DEP_2)
	v_and_or_b32 v4, 0x1ff, v5, v4
	v_lshrrev_b32_e32 v6, 8, v3
	v_bfe_u32 v7, v3, 20, 11
	v_lshrrev_b32_e32 v8, 8, v5
	v_cmp_ne_u32_e32 vcc_lo, 0, v2
	v_bfe_u32 v9, v5, 20, 11
	v_lshrrev_b32_e32 v3, 16, v3
	v_sub_nc_u32_e32 v10, 0x3f1, v7
	v_add_nc_u32_e32 v7, 0xfffffc10, v7
	s_wait_alu 0xfffd
	v_cndmask_b32_e64 v2, 0, 1, vcc_lo
	v_cmp_ne_u32_e32 vcc_lo, 0, v4
	v_lshrrev_b32_e32 v5, 16, v5
	s_delay_alu instid0(VALU_DEP_3) | instskip(SKIP_4) | instid1(VALU_DEP_3)
	v_and_or_b32 v2, 0xffe, v6, v2
	s_wait_alu 0xfffd
	v_cndmask_b32_e64 v4, 0, 1, vcc_lo
	v_sub_nc_u32_e32 v6, 0x3f1, v9
	v_add_nc_u32_e32 v9, 0xfffffc10, v9
	v_and_or_b32 v4, 0xffe, v8, v4
	v_med3_i32 v8, v10, 0, 13
	v_or_b32_e32 v10, 0x1000, v2
	v_med3_i32 v6, v6, 0, 13
	s_delay_alu instid0(VALU_DEP_4) | instskip(NEXT) | instid1(VALU_DEP_3)
	v_or_b32_e32 v11, 0x1000, v4
	v_lshrrev_b32_e32 v12, v8, v10
	s_delay_alu instid0(VALU_DEP_2) | instskip(NEXT) | instid1(VALU_DEP_2)
	v_lshrrev_b32_e32 v13, v6, v11
	v_lshlrev_b32_e32 v8, v8, v12
	s_delay_alu instid0(VALU_DEP_2) | instskip(NEXT) | instid1(VALU_DEP_2)
	v_lshlrev_b32_e32 v6, v6, v13
	v_cmp_ne_u32_e32 vcc_lo, v8, v10
	v_lshl_or_b32 v10, v7, 12, v2
	s_wait_alu 0xfffd
	v_cndmask_b32_e64 v8, 0, 1, vcc_lo
	v_cmp_ne_u32_e32 vcc_lo, v6, v11
	v_lshl_or_b32 v11, v9, 12, v4
	s_delay_alu instid0(VALU_DEP_3) | instskip(SKIP_3) | instid1(VALU_DEP_2)
	v_or_b32_e32 v8, v12, v8
	s_wait_alu 0xfffd
	v_cndmask_b32_e64 v6, 0, 1, vcc_lo
	v_cmp_gt_i32_e32 vcc_lo, 1, v7
	v_or_b32_e32 v6, v13, v6
	s_wait_alu 0xfffd
	v_cndmask_b32_e32 v8, v10, v8, vcc_lo
	v_cmp_gt_i32_e32 vcc_lo, 1, v9
	s_wait_alu 0xfffd
	v_cndmask_b32_e32 v6, v11, v6, vcc_lo
	v_cmp_ne_u32_e32 vcc_lo, 0, v2
	s_delay_alu instid0(VALU_DEP_2)
	v_and_b32_e32 v11, 7, v6
	s_wait_alu 0xfffd
	v_cndmask_b32_e64 v2, 0, 1, vcc_lo
	v_and_b32_e32 v10, 7, v8
	v_cmp_ne_u32_e32 vcc_lo, 0, v4
	v_lshrrev_b32_e32 v8, 2, v8
	v_cmp_lt_i32_e64 s1, 5, v11
	v_cmp_eq_u32_e64 s2, 3, v11
	v_cmp_eq_u32_e64 s0, 3, v10
	s_wait_alu 0xfffd
	v_cndmask_b32_e64 v4, 0, 1, vcc_lo
	v_cmp_lt_i32_e32 vcc_lo, 5, v10
	v_lshrrev_b32_e32 v6, 2, v6
	v_lshl_or_b32 v2, v2, 9, 0x7c00
	s_delay_alu instid0(VALU_DEP_4)
	v_lshl_or_b32 v4, v4, 9, 0x7c00
	s_or_b32 vcc_lo, s0, vcc_lo
	s_wait_alu 0xfffe
	v_add_co_ci_u32_e32 v8, vcc_lo, 0, v8, vcc_lo
	s_or_b32 vcc_lo, s2, s1
	s_wait_alu 0xfffe
	v_add_co_ci_u32_e32 v6, vcc_lo, 0, v6, vcc_lo
	v_cmp_gt_i32_e32 vcc_lo, 31, v7
	s_wait_alu 0xfffd
	v_cndmask_b32_e32 v8, 0x7c00, v8, vcc_lo
	v_cmp_gt_i32_e32 vcc_lo, 31, v9
	s_wait_alu 0xfffd
	v_cndmask_b32_e32 v6, 0x7c00, v6, vcc_lo
	v_cmp_eq_u32_e32 vcc_lo, 0x40f, v7
	s_wait_alu 0xfffd
	v_cndmask_b32_e32 v2, v8, v2, vcc_lo
	v_cmp_eq_u32_e32 vcc_lo, 0x40f, v9
	s_delay_alu instid0(VALU_DEP_2)
	v_and_or_b32 v2, 0x8000, v3, v2
	s_wait_alu 0xfffd
	v_cndmask_b32_e32 v4, v6, v4, vcc_lo
	v_add_co_u32 v0, vcc_lo, v0, s6
	s_wait_alu 0xfffd
	v_add_co_ci_u32_e32 v1, vcc_lo, s7, v1, vcc_lo
	s_delay_alu instid0(VALU_DEP_3) | instskip(SKIP_1) | instid1(VALU_DEP_1)
	v_and_or_b32 v3, 0x8000, v5, v4
	v_and_b32_e32 v2, 0xffff, v2
	v_lshl_or_b32 v2, v3, 16, v2
	global_store_b32 v[0:1], v2, off
	global_load_b32 v4, v[56:57], off offset:1440
	ds_load_2addr_b32 v[2:3], v68 offset0:104 offset1:229
	s_wait_dscnt 0x0
	v_lshrrev_b32_e32 v5, 16, v2
	s_wait_loadcnt 0x0
	v_lshrrev_b32_e32 v6, 16, v4
	s_delay_alu instid0(VALU_DEP_1) | instskip(SKIP_1) | instid1(VALU_DEP_2)
	v_mul_f16_e32 v7, v5, v6
	v_mul_f16_e32 v6, v2, v6
	v_fmac_f16_e32 v7, v2, v4
	s_delay_alu instid0(VALU_DEP_2) | instskip(NEXT) | instid1(VALU_DEP_2)
	v_fma_f16 v2, v4, v5, -v6
	v_cvt_f32_f16_e32 v4, v7
	s_delay_alu instid0(VALU_DEP_2) | instskip(NEXT) | instid1(VALU_DEP_2)
	v_cvt_f32_f16_e32 v2, v2
	v_cvt_f64_f32_e32 v[4:5], v4
	s_delay_alu instid0(VALU_DEP_2) | instskip(NEXT) | instid1(VALU_DEP_2)
	v_cvt_f64_f32_e32 v[6:7], v2
	v_mul_f64_e32 v[4:5], s[8:9], v[4:5]
	s_delay_alu instid0(VALU_DEP_2) | instskip(NEXT) | instid1(VALU_DEP_2)
	v_mul_f64_e32 v[6:7], s[8:9], v[6:7]
	v_and_or_b32 v2, 0x1ff, v5, v4
	s_delay_alu instid0(VALU_DEP_2)
	v_and_or_b32 v6, 0x1ff, v7, v6
	v_lshrrev_b32_e32 v4, 8, v5
	v_bfe_u32 v8, v5, 20, 11
	v_lshrrev_b32_e32 v9, 8, v7
	v_cmp_ne_u32_e32 vcc_lo, 0, v2
	v_bfe_u32 v10, v7, 20, 11
	v_lshrrev_b32_e32 v5, 16, v5
	v_sub_nc_u32_e32 v11, 0x3f1, v8
	v_add_nc_u32_e32 v8, 0xfffffc10, v8
	s_wait_alu 0xfffd
	v_cndmask_b32_e64 v2, 0, 1, vcc_lo
	v_cmp_ne_u32_e32 vcc_lo, 0, v6
	v_lshrrev_b32_e32 v7, 16, v7
	s_delay_alu instid0(VALU_DEP_3) | instskip(SKIP_4) | instid1(VALU_DEP_3)
	v_and_or_b32 v2, 0xffe, v4, v2
	s_wait_alu 0xfffd
	v_cndmask_b32_e64 v6, 0, 1, vcc_lo
	v_sub_nc_u32_e32 v4, 0x3f1, v10
	v_add_nc_u32_e32 v10, 0xfffffc10, v10
	v_and_or_b32 v6, 0xffe, v9, v6
	v_med3_i32 v9, v11, 0, 13
	v_or_b32_e32 v11, 0x1000, v2
	v_med3_i32 v4, v4, 0, 13
	s_delay_alu instid0(VALU_DEP_4) | instskip(NEXT) | instid1(VALU_DEP_3)
	v_or_b32_e32 v12, 0x1000, v6
	v_lshrrev_b32_e32 v13, v9, v11
	s_delay_alu instid0(VALU_DEP_2) | instskip(NEXT) | instid1(VALU_DEP_2)
	v_lshrrev_b32_e32 v14, v4, v12
	v_lshlrev_b32_e32 v9, v9, v13
	s_delay_alu instid0(VALU_DEP_2) | instskip(NEXT) | instid1(VALU_DEP_2)
	v_lshlrev_b32_e32 v4, v4, v14
	v_cmp_ne_u32_e32 vcc_lo, v9, v11
	v_lshl_or_b32 v11, v8, 12, v2
	s_wait_alu 0xfffd
	v_cndmask_b32_e64 v9, 0, 1, vcc_lo
	v_cmp_ne_u32_e32 vcc_lo, v4, v12
	v_lshl_or_b32 v12, v10, 12, v6
	s_delay_alu instid0(VALU_DEP_3) | instskip(SKIP_3) | instid1(VALU_DEP_2)
	v_or_b32_e32 v9, v13, v9
	s_wait_alu 0xfffd
	v_cndmask_b32_e64 v4, 0, 1, vcc_lo
	v_cmp_gt_i32_e32 vcc_lo, 1, v8
	v_or_b32_e32 v4, v14, v4
	s_wait_alu 0xfffd
	v_cndmask_b32_e32 v9, v11, v9, vcc_lo
	v_cmp_gt_i32_e32 vcc_lo, 1, v10
	s_wait_alu 0xfffd
	s_delay_alu instid0(VALU_DEP_2) | instskip(SKIP_2) | instid1(VALU_DEP_3)
	v_dual_cndmask_b32 v4, v12, v4 :: v_dual_and_b32 v11, 7, v9
	v_cmp_ne_u32_e32 vcc_lo, 0, v2
	v_lshrrev_b32_e32 v9, 2, v9
	v_cmp_eq_u32_e64 s0, 3, v11
	s_delay_alu instid0(VALU_DEP_4)
	v_and_b32_e32 v12, 7, v4
	s_wait_alu 0xfffd
	v_cndmask_b32_e64 v2, 0, 1, vcc_lo
	v_cmp_ne_u32_e32 vcc_lo, 0, v6
	v_lshrrev_b32_e32 v4, 2, v4
	v_cmp_lt_i32_e64 s1, 5, v12
	v_cmp_eq_u32_e64 s2, 3, v12
	s_wait_alu 0xfffd
	v_cndmask_b32_e64 v6, 0, 1, vcc_lo
	v_cmp_lt_i32_e32 vcc_lo, 5, v11
	v_lshl_or_b32 v2, v2, 9, 0x7c00
	s_delay_alu instid0(VALU_DEP_3)
	v_lshl_or_b32 v6, v6, 9, 0x7c00
	s_or_b32 vcc_lo, s0, vcc_lo
	s_wait_alu 0xfffe
	v_add_co_ci_u32_e32 v9, vcc_lo, 0, v9, vcc_lo
	s_or_b32 vcc_lo, s2, s1
	s_wait_alu 0xfffe
	v_add_co_ci_u32_e32 v4, vcc_lo, 0, v4, vcc_lo
	v_cmp_gt_i32_e32 vcc_lo, 31, v8
	s_wait_alu 0xfffd
	v_cndmask_b32_e32 v9, 0x7c00, v9, vcc_lo
	v_cmp_gt_i32_e32 vcc_lo, 31, v10
	s_wait_alu 0xfffd
	v_cndmask_b32_e32 v4, 0x7c00, v4, vcc_lo
	v_cmp_eq_u32_e32 vcc_lo, 0x40f, v8
	s_wait_alu 0xfffd
	v_cndmask_b32_e32 v2, v9, v2, vcc_lo
	v_cmp_eq_u32_e32 vcc_lo, 0x40f, v10
	s_delay_alu instid0(VALU_DEP_2)
	v_and_or_b32 v2, 0x8000, v5, v2
	s_wait_alu 0xfffd
	v_cndmask_b32_e32 v4, v4, v6, vcc_lo
	v_add_co_u32 v0, vcc_lo, v0, s6
	s_wait_alu 0xfffd
	v_add_co_ci_u32_e32 v1, vcc_lo, s7, v1, vcc_lo
	s_delay_alu instid0(VALU_DEP_3) | instskip(SKIP_1) | instid1(VALU_DEP_1)
	v_and_or_b32 v4, 0x8000, v7, v4
	v_and_b32_e32 v2, 0xffff, v2
	v_lshl_or_b32 v2, v4, 16, v2
	v_lshrrev_b32_e32 v4, 16, v3
	global_store_b32 v[0:1], v2, off
	global_load_b32 v2, v[56:57], off offset:1940
	s_wait_loadcnt 0x0
	v_lshrrev_b32_e32 v5, 16, v2
	s_delay_alu instid0(VALU_DEP_1) | instskip(SKIP_1) | instid1(VALU_DEP_2)
	v_mul_f16_e32 v6, v4, v5
	v_mul_f16_e32 v5, v3, v5
	v_fmac_f16_e32 v6, v3, v2
	s_delay_alu instid0(VALU_DEP_2) | instskip(NEXT) | instid1(VALU_DEP_2)
	v_fma_f16 v2, v2, v4, -v5
	v_cvt_f32_f16_e32 v3, v6
	s_delay_alu instid0(VALU_DEP_2) | instskip(NEXT) | instid1(VALU_DEP_2)
	v_cvt_f32_f16_e32 v4, v2
	v_cvt_f64_f32_e32 v[2:3], v3
	s_delay_alu instid0(VALU_DEP_2) | instskip(NEXT) | instid1(VALU_DEP_2)
	v_cvt_f64_f32_e32 v[4:5], v4
	v_mul_f64_e32 v[2:3], s[8:9], v[2:3]
	s_delay_alu instid0(VALU_DEP_2) | instskip(NEXT) | instid1(VALU_DEP_2)
	v_mul_f64_e32 v[4:5], s[8:9], v[4:5]
	v_and_or_b32 v2, 0x1ff, v3, v2
	s_delay_alu instid0(VALU_DEP_2)
	v_and_or_b32 v4, 0x1ff, v5, v4
	v_lshrrev_b32_e32 v6, 8, v3
	v_bfe_u32 v7, v3, 20, 11
	v_lshrrev_b32_e32 v8, 8, v5
	v_cmp_ne_u32_e32 vcc_lo, 0, v2
	v_bfe_u32 v9, v5, 20, 11
	v_lshrrev_b32_e32 v3, 16, v3
	v_sub_nc_u32_e32 v10, 0x3f1, v7
	v_add_nc_u32_e32 v7, 0xfffffc10, v7
	s_wait_alu 0xfffd
	v_cndmask_b32_e64 v2, 0, 1, vcc_lo
	v_cmp_ne_u32_e32 vcc_lo, 0, v4
	v_lshrrev_b32_e32 v5, 16, v5
	s_delay_alu instid0(VALU_DEP_3) | instskip(SKIP_4) | instid1(VALU_DEP_3)
	v_and_or_b32 v2, 0xffe, v6, v2
	s_wait_alu 0xfffd
	v_cndmask_b32_e64 v4, 0, 1, vcc_lo
	v_sub_nc_u32_e32 v6, 0x3f1, v9
	v_add_nc_u32_e32 v9, 0xfffffc10, v9
	v_and_or_b32 v4, 0xffe, v8, v4
	v_med3_i32 v8, v10, 0, 13
	v_or_b32_e32 v10, 0x1000, v2
	v_med3_i32 v6, v6, 0, 13
	s_delay_alu instid0(VALU_DEP_4) | instskip(NEXT) | instid1(VALU_DEP_3)
	v_or_b32_e32 v11, 0x1000, v4
	v_lshrrev_b32_e32 v12, v8, v10
	s_delay_alu instid0(VALU_DEP_2) | instskip(NEXT) | instid1(VALU_DEP_2)
	v_lshrrev_b32_e32 v13, v6, v11
	v_lshlrev_b32_e32 v8, v8, v12
	s_delay_alu instid0(VALU_DEP_2) | instskip(NEXT) | instid1(VALU_DEP_2)
	v_lshlrev_b32_e32 v6, v6, v13
	v_cmp_ne_u32_e32 vcc_lo, v8, v10
	v_lshl_or_b32 v10, v7, 12, v2
	s_wait_alu 0xfffd
	v_cndmask_b32_e64 v8, 0, 1, vcc_lo
	v_cmp_ne_u32_e32 vcc_lo, v6, v11
	v_lshl_or_b32 v11, v9, 12, v4
	s_delay_alu instid0(VALU_DEP_3) | instskip(SKIP_3) | instid1(VALU_DEP_2)
	v_or_b32_e32 v8, v12, v8
	s_wait_alu 0xfffd
	v_cndmask_b32_e64 v6, 0, 1, vcc_lo
	v_cmp_gt_i32_e32 vcc_lo, 1, v7
	v_or_b32_e32 v6, v13, v6
	s_wait_alu 0xfffd
	v_cndmask_b32_e32 v8, v10, v8, vcc_lo
	v_cmp_gt_i32_e32 vcc_lo, 1, v9
	s_delay_alu instid0(VALU_DEP_2)
	v_and_b32_e32 v10, 7, v8
	s_wait_alu 0xfffd
	v_cndmask_b32_e32 v6, v11, v6, vcc_lo
	v_cmp_ne_u32_e32 vcc_lo, 0, v2
	v_lshrrev_b32_e32 v8, 2, v8
	v_cmp_eq_u32_e64 s0, 3, v10
	s_delay_alu instid0(VALU_DEP_4)
	v_and_b32_e32 v11, 7, v6
	s_wait_alu 0xfffd
	v_cndmask_b32_e64 v2, 0, 1, vcc_lo
	v_cmp_ne_u32_e32 vcc_lo, 0, v4
	v_lshrrev_b32_e32 v6, 2, v6
	v_cmp_lt_i32_e64 s1, 5, v11
	v_cmp_eq_u32_e64 s2, 3, v11
	s_wait_alu 0xfffd
	v_cndmask_b32_e64 v4, 0, 1, vcc_lo
	v_cmp_lt_i32_e32 vcc_lo, 5, v10
	v_lshl_or_b32 v2, v2, 9, 0x7c00
	s_delay_alu instid0(VALU_DEP_3)
	v_lshl_or_b32 v4, v4, 9, 0x7c00
	s_or_b32 vcc_lo, s0, vcc_lo
	s_wait_alu 0xfffe
	v_add_co_ci_u32_e32 v8, vcc_lo, 0, v8, vcc_lo
	s_or_b32 vcc_lo, s2, s1
	s_wait_alu 0xfffe
	v_add_co_ci_u32_e32 v6, vcc_lo, 0, v6, vcc_lo
	v_cmp_gt_i32_e32 vcc_lo, 31, v7
	s_wait_alu 0xfffd
	v_cndmask_b32_e32 v8, 0x7c00, v8, vcc_lo
	v_cmp_gt_i32_e32 vcc_lo, 31, v9
	s_wait_alu 0xfffd
	v_cndmask_b32_e32 v6, 0x7c00, v6, vcc_lo
	v_cmp_eq_u32_e32 vcc_lo, 0x40f, v7
	s_wait_alu 0xfffd
	v_cndmask_b32_e32 v2, v8, v2, vcc_lo
	v_cmp_eq_u32_e32 vcc_lo, 0x40f, v9
	s_delay_alu instid0(VALU_DEP_2)
	v_and_or_b32 v2, 0x8000, v3, v2
	s_wait_alu 0xfffd
	v_cndmask_b32_e32 v4, v6, v4, vcc_lo
	v_add_co_u32 v0, vcc_lo, v0, s6
	s_wait_alu 0xfffd
	v_add_co_ci_u32_e32 v1, vcc_lo, s7, v1, vcc_lo
	s_delay_alu instid0(VALU_DEP_3) | instskip(SKIP_1) | instid1(VALU_DEP_1)
	v_and_or_b32 v3, 0x8000, v5, v4
	v_and_b32_e32 v2, 0xffff, v2
	v_lshl_or_b32 v2, v3, 16, v2
	global_store_b32 v[0:1], v2, off
	global_load_b32 v4, v[56:57], off offset:2440
	ds_load_2addr_b32 v[2:3], v67 offset0:98 offset1:223
	s_wait_dscnt 0x0
	v_lshrrev_b32_e32 v5, 16, v2
	s_wait_loadcnt 0x0
	v_lshrrev_b32_e32 v6, 16, v4
	s_delay_alu instid0(VALU_DEP_1) | instskip(SKIP_1) | instid1(VALU_DEP_2)
	v_mul_f16_e32 v7, v5, v6
	v_mul_f16_e32 v6, v2, v6
	v_fmac_f16_e32 v7, v2, v4
	s_delay_alu instid0(VALU_DEP_2) | instskip(NEXT) | instid1(VALU_DEP_2)
	v_fma_f16 v2, v4, v5, -v6
	v_cvt_f32_f16_e32 v4, v7
	s_delay_alu instid0(VALU_DEP_2) | instskip(NEXT) | instid1(VALU_DEP_2)
	v_cvt_f32_f16_e32 v2, v2
	v_cvt_f64_f32_e32 v[4:5], v4
	s_delay_alu instid0(VALU_DEP_2) | instskip(NEXT) | instid1(VALU_DEP_2)
	v_cvt_f64_f32_e32 v[6:7], v2
	v_mul_f64_e32 v[4:5], s[8:9], v[4:5]
	s_delay_alu instid0(VALU_DEP_2) | instskip(NEXT) | instid1(VALU_DEP_2)
	v_mul_f64_e32 v[6:7], s[8:9], v[6:7]
	v_and_or_b32 v2, 0x1ff, v5, v4
	s_delay_alu instid0(VALU_DEP_2)
	v_and_or_b32 v6, 0x1ff, v7, v6
	v_lshrrev_b32_e32 v4, 8, v5
	v_bfe_u32 v8, v5, 20, 11
	v_lshrrev_b32_e32 v9, 8, v7
	v_cmp_ne_u32_e32 vcc_lo, 0, v2
	v_bfe_u32 v10, v7, 20, 11
	v_lshrrev_b32_e32 v5, 16, v5
	v_sub_nc_u32_e32 v11, 0x3f1, v8
	v_add_nc_u32_e32 v8, 0xfffffc10, v8
	s_wait_alu 0xfffd
	v_cndmask_b32_e64 v2, 0, 1, vcc_lo
	v_cmp_ne_u32_e32 vcc_lo, 0, v6
	v_lshrrev_b32_e32 v7, 16, v7
	s_delay_alu instid0(VALU_DEP_3) | instskip(SKIP_4) | instid1(VALU_DEP_3)
	v_and_or_b32 v2, 0xffe, v4, v2
	s_wait_alu 0xfffd
	v_cndmask_b32_e64 v6, 0, 1, vcc_lo
	v_sub_nc_u32_e32 v4, 0x3f1, v10
	v_add_nc_u32_e32 v10, 0xfffffc10, v10
	v_and_or_b32 v6, 0xffe, v9, v6
	v_med3_i32 v9, v11, 0, 13
	v_or_b32_e32 v11, 0x1000, v2
	v_med3_i32 v4, v4, 0, 13
	s_delay_alu instid0(VALU_DEP_4) | instskip(NEXT) | instid1(VALU_DEP_3)
	v_or_b32_e32 v12, 0x1000, v6
	v_lshrrev_b32_e32 v13, v9, v11
	s_delay_alu instid0(VALU_DEP_2) | instskip(NEXT) | instid1(VALU_DEP_2)
	v_lshrrev_b32_e32 v14, v4, v12
	v_lshlrev_b32_e32 v9, v9, v13
	s_delay_alu instid0(VALU_DEP_2) | instskip(NEXT) | instid1(VALU_DEP_2)
	v_lshlrev_b32_e32 v4, v4, v14
	v_cmp_ne_u32_e32 vcc_lo, v9, v11
	v_lshl_or_b32 v11, v8, 12, v2
	s_wait_alu 0xfffd
	v_cndmask_b32_e64 v9, 0, 1, vcc_lo
	v_cmp_ne_u32_e32 vcc_lo, v4, v12
	v_lshl_or_b32 v12, v10, 12, v6
	s_delay_alu instid0(VALU_DEP_3) | instskip(SKIP_3) | instid1(VALU_DEP_2)
	v_or_b32_e32 v9, v13, v9
	s_wait_alu 0xfffd
	v_cndmask_b32_e64 v4, 0, 1, vcc_lo
	v_cmp_gt_i32_e32 vcc_lo, 1, v8
	v_or_b32_e32 v4, v14, v4
	s_wait_alu 0xfffd
	v_cndmask_b32_e32 v9, v11, v9, vcc_lo
	v_cmp_gt_i32_e32 vcc_lo, 1, v10
	s_wait_alu 0xfffd
	s_delay_alu instid0(VALU_DEP_2) | instskip(SKIP_2) | instid1(VALU_DEP_3)
	v_dual_cndmask_b32 v4, v12, v4 :: v_dual_and_b32 v11, 7, v9
	v_cmp_ne_u32_e32 vcc_lo, 0, v2
	v_lshrrev_b32_e32 v9, 2, v9
	v_cmp_eq_u32_e64 s0, 3, v11
	s_delay_alu instid0(VALU_DEP_4)
	v_and_b32_e32 v12, 7, v4
	s_wait_alu 0xfffd
	v_cndmask_b32_e64 v2, 0, 1, vcc_lo
	v_cmp_ne_u32_e32 vcc_lo, 0, v6
	v_lshrrev_b32_e32 v4, 2, v4
	v_cmp_lt_i32_e64 s1, 5, v12
	v_cmp_eq_u32_e64 s2, 3, v12
	s_wait_alu 0xfffd
	v_cndmask_b32_e64 v6, 0, 1, vcc_lo
	v_cmp_lt_i32_e32 vcc_lo, 5, v11
	v_lshl_or_b32 v2, v2, 9, 0x7c00
	s_delay_alu instid0(VALU_DEP_3)
	v_lshl_or_b32 v6, v6, 9, 0x7c00
	s_or_b32 vcc_lo, s0, vcc_lo
	s_wait_alu 0xfffe
	v_add_co_ci_u32_e32 v9, vcc_lo, 0, v9, vcc_lo
	s_or_b32 vcc_lo, s2, s1
	s_wait_alu 0xfffe
	v_add_co_ci_u32_e32 v4, vcc_lo, 0, v4, vcc_lo
	v_cmp_gt_i32_e32 vcc_lo, 31, v8
	s_wait_alu 0xfffd
	v_cndmask_b32_e32 v9, 0x7c00, v9, vcc_lo
	v_cmp_gt_i32_e32 vcc_lo, 31, v10
	s_wait_alu 0xfffd
	v_cndmask_b32_e32 v4, 0x7c00, v4, vcc_lo
	v_cmp_eq_u32_e32 vcc_lo, 0x40f, v8
	s_wait_alu 0xfffd
	v_cndmask_b32_e32 v2, v9, v2, vcc_lo
	v_cmp_eq_u32_e32 vcc_lo, 0x40f, v10
	s_delay_alu instid0(VALU_DEP_2)
	v_and_or_b32 v2, 0x8000, v5, v2
	s_wait_alu 0xfffd
	v_cndmask_b32_e32 v4, v4, v6, vcc_lo
	v_add_co_u32 v0, vcc_lo, v0, s6
	s_wait_alu 0xfffd
	v_add_co_ci_u32_e32 v1, vcc_lo, s7, v1, vcc_lo
	s_delay_alu instid0(VALU_DEP_3) | instskip(SKIP_1) | instid1(VALU_DEP_1)
	v_and_or_b32 v4, 0x8000, v7, v4
	v_and_b32_e32 v2, 0xffff, v2
	v_lshl_or_b32 v2, v4, 16, v2
	v_lshrrev_b32_e32 v4, 16, v3
	global_store_b32 v[0:1], v2, off
	global_load_b32 v2, v[56:57], off offset:2940
	s_wait_loadcnt 0x0
	v_lshrrev_b32_e32 v5, 16, v2
	s_delay_alu instid0(VALU_DEP_1) | instskip(SKIP_1) | instid1(VALU_DEP_2)
	v_mul_f16_e32 v6, v4, v5
	v_mul_f16_e32 v5, v3, v5
	v_fmac_f16_e32 v6, v3, v2
	s_delay_alu instid0(VALU_DEP_2) | instskip(NEXT) | instid1(VALU_DEP_2)
	v_fma_f16 v2, v2, v4, -v5
	v_cvt_f32_f16_e32 v3, v6
	s_delay_alu instid0(VALU_DEP_2) | instskip(NEXT) | instid1(VALU_DEP_2)
	v_cvt_f32_f16_e32 v4, v2
	v_cvt_f64_f32_e32 v[2:3], v3
	s_delay_alu instid0(VALU_DEP_2) | instskip(NEXT) | instid1(VALU_DEP_2)
	v_cvt_f64_f32_e32 v[4:5], v4
	v_mul_f64_e32 v[2:3], s[8:9], v[2:3]
	s_delay_alu instid0(VALU_DEP_2) | instskip(NEXT) | instid1(VALU_DEP_2)
	v_mul_f64_e32 v[4:5], s[8:9], v[4:5]
	v_and_or_b32 v2, 0x1ff, v3, v2
	s_delay_alu instid0(VALU_DEP_2)
	v_and_or_b32 v4, 0x1ff, v5, v4
	v_lshrrev_b32_e32 v6, 8, v3
	v_bfe_u32 v7, v3, 20, 11
	v_lshrrev_b32_e32 v8, 8, v5
	v_cmp_ne_u32_e32 vcc_lo, 0, v2
	v_bfe_u32 v9, v5, 20, 11
	v_lshrrev_b32_e32 v3, 16, v3
	v_sub_nc_u32_e32 v10, 0x3f1, v7
	v_add_nc_u32_e32 v7, 0xfffffc10, v7
	s_wait_alu 0xfffd
	v_cndmask_b32_e64 v2, 0, 1, vcc_lo
	v_cmp_ne_u32_e32 vcc_lo, 0, v4
	v_lshrrev_b32_e32 v5, 16, v5
	s_delay_alu instid0(VALU_DEP_3) | instskip(SKIP_4) | instid1(VALU_DEP_3)
	v_and_or_b32 v2, 0xffe, v6, v2
	s_wait_alu 0xfffd
	v_cndmask_b32_e64 v4, 0, 1, vcc_lo
	v_sub_nc_u32_e32 v6, 0x3f1, v9
	v_add_nc_u32_e32 v9, 0xfffffc10, v9
	v_and_or_b32 v4, 0xffe, v8, v4
	v_med3_i32 v8, v10, 0, 13
	v_or_b32_e32 v10, 0x1000, v2
	v_med3_i32 v6, v6, 0, 13
	s_delay_alu instid0(VALU_DEP_4) | instskip(NEXT) | instid1(VALU_DEP_3)
	v_or_b32_e32 v11, 0x1000, v4
	v_lshrrev_b32_e32 v12, v8, v10
	s_delay_alu instid0(VALU_DEP_2) | instskip(NEXT) | instid1(VALU_DEP_2)
	v_lshrrev_b32_e32 v13, v6, v11
	v_lshlrev_b32_e32 v8, v8, v12
	s_delay_alu instid0(VALU_DEP_2) | instskip(NEXT) | instid1(VALU_DEP_2)
	v_lshlrev_b32_e32 v6, v6, v13
	v_cmp_ne_u32_e32 vcc_lo, v8, v10
	v_lshl_or_b32 v10, v7, 12, v2
	s_wait_alu 0xfffd
	v_cndmask_b32_e64 v8, 0, 1, vcc_lo
	v_cmp_ne_u32_e32 vcc_lo, v6, v11
	v_lshl_or_b32 v11, v9, 12, v4
	s_delay_alu instid0(VALU_DEP_3) | instskip(SKIP_3) | instid1(VALU_DEP_2)
	v_or_b32_e32 v8, v12, v8
	s_wait_alu 0xfffd
	v_cndmask_b32_e64 v6, 0, 1, vcc_lo
	v_cmp_gt_i32_e32 vcc_lo, 1, v7
	v_or_b32_e32 v6, v13, v6
	s_wait_alu 0xfffd
	v_cndmask_b32_e32 v8, v10, v8, vcc_lo
	v_cmp_gt_i32_e32 vcc_lo, 1, v9
	s_delay_alu instid0(VALU_DEP_2)
	v_and_b32_e32 v10, 7, v8
	s_wait_alu 0xfffd
	v_cndmask_b32_e32 v6, v11, v6, vcc_lo
	v_cmp_ne_u32_e32 vcc_lo, 0, v2
	v_lshrrev_b32_e32 v8, 2, v8
	v_cmp_eq_u32_e64 s0, 3, v10
	s_delay_alu instid0(VALU_DEP_4)
	v_and_b32_e32 v11, 7, v6
	s_wait_alu 0xfffd
	v_cndmask_b32_e64 v2, 0, 1, vcc_lo
	v_cmp_ne_u32_e32 vcc_lo, 0, v4
	v_lshrrev_b32_e32 v6, 2, v6
	v_cmp_lt_i32_e64 s1, 5, v11
	v_cmp_eq_u32_e64 s2, 3, v11
	s_wait_alu 0xfffd
	v_cndmask_b32_e64 v4, 0, 1, vcc_lo
	v_cmp_lt_i32_e32 vcc_lo, 5, v10
	v_lshl_or_b32 v2, v2, 9, 0x7c00
	s_delay_alu instid0(VALU_DEP_3)
	v_lshl_or_b32 v4, v4, 9, 0x7c00
	s_or_b32 vcc_lo, s0, vcc_lo
	s_wait_alu 0xfffe
	v_add_co_ci_u32_e32 v8, vcc_lo, 0, v8, vcc_lo
	s_or_b32 vcc_lo, s2, s1
	s_wait_alu 0xfffe
	v_add_co_ci_u32_e32 v6, vcc_lo, 0, v6, vcc_lo
	v_cmp_gt_i32_e32 vcc_lo, 31, v7
	s_wait_alu 0xfffd
	v_cndmask_b32_e32 v8, 0x7c00, v8, vcc_lo
	v_cmp_gt_i32_e32 vcc_lo, 31, v9
	s_wait_alu 0xfffd
	v_cndmask_b32_e32 v6, 0x7c00, v6, vcc_lo
	v_cmp_eq_u32_e32 vcc_lo, 0x40f, v7
	s_wait_alu 0xfffd
	v_cndmask_b32_e32 v2, v8, v2, vcc_lo
	v_cmp_eq_u32_e32 vcc_lo, 0x40f, v9
	s_delay_alu instid0(VALU_DEP_2)
	v_and_or_b32 v2, 0x8000, v3, v2
	s_wait_alu 0xfffd
	v_cndmask_b32_e32 v4, v6, v4, vcc_lo
	v_add_co_u32 v0, vcc_lo, v0, s6
	s_wait_alu 0xfffd
	v_add_co_ci_u32_e32 v1, vcc_lo, s7, v1, vcc_lo
	s_delay_alu instid0(VALU_DEP_3) | instskip(SKIP_1) | instid1(VALU_DEP_1)
	v_and_or_b32 v3, 0x8000, v5, v4
	v_and_b32_e32 v2, 0xffff, v2
	v_lshl_or_b32 v2, v3, 16, v2
	global_store_b32 v[0:1], v2, off
	global_load_b32 v4, v[56:57], off offset:3440
	ds_load_2addr_b32 v[2:3], v66 offset0:92 offset1:217
	s_wait_dscnt 0x0
	v_lshrrev_b32_e32 v5, 16, v2
	s_wait_loadcnt 0x0
	v_lshrrev_b32_e32 v6, 16, v4
	s_delay_alu instid0(VALU_DEP_1) | instskip(SKIP_1) | instid1(VALU_DEP_2)
	v_mul_f16_e32 v7, v5, v6
	v_mul_f16_e32 v6, v2, v6
	v_fmac_f16_e32 v7, v2, v4
	s_delay_alu instid0(VALU_DEP_2) | instskip(NEXT) | instid1(VALU_DEP_2)
	v_fma_f16 v2, v4, v5, -v6
	v_cvt_f32_f16_e32 v4, v7
	s_delay_alu instid0(VALU_DEP_2) | instskip(NEXT) | instid1(VALU_DEP_2)
	v_cvt_f32_f16_e32 v2, v2
	v_cvt_f64_f32_e32 v[4:5], v4
	s_delay_alu instid0(VALU_DEP_2) | instskip(NEXT) | instid1(VALU_DEP_2)
	v_cvt_f64_f32_e32 v[6:7], v2
	v_mul_f64_e32 v[4:5], s[8:9], v[4:5]
	s_delay_alu instid0(VALU_DEP_2) | instskip(NEXT) | instid1(VALU_DEP_2)
	v_mul_f64_e32 v[6:7], s[8:9], v[6:7]
	v_and_or_b32 v2, 0x1ff, v5, v4
	s_delay_alu instid0(VALU_DEP_2)
	v_and_or_b32 v6, 0x1ff, v7, v6
	v_lshrrev_b32_e32 v4, 8, v5
	v_bfe_u32 v8, v5, 20, 11
	v_lshrrev_b32_e32 v9, 8, v7
	v_cmp_ne_u32_e32 vcc_lo, 0, v2
	v_bfe_u32 v10, v7, 20, 11
	v_lshrrev_b32_e32 v5, 16, v5
	v_sub_nc_u32_e32 v11, 0x3f1, v8
	v_add_nc_u32_e32 v8, 0xfffffc10, v8
	s_wait_alu 0xfffd
	v_cndmask_b32_e64 v2, 0, 1, vcc_lo
	v_cmp_ne_u32_e32 vcc_lo, 0, v6
	v_lshrrev_b32_e32 v7, 16, v7
	s_delay_alu instid0(VALU_DEP_3) | instskip(SKIP_4) | instid1(VALU_DEP_3)
	v_and_or_b32 v2, 0xffe, v4, v2
	s_wait_alu 0xfffd
	v_cndmask_b32_e64 v6, 0, 1, vcc_lo
	v_sub_nc_u32_e32 v4, 0x3f1, v10
	v_add_nc_u32_e32 v10, 0xfffffc10, v10
	v_and_or_b32 v6, 0xffe, v9, v6
	v_med3_i32 v9, v11, 0, 13
	v_or_b32_e32 v11, 0x1000, v2
	v_med3_i32 v4, v4, 0, 13
	s_delay_alu instid0(VALU_DEP_4) | instskip(NEXT) | instid1(VALU_DEP_3)
	v_or_b32_e32 v12, 0x1000, v6
	v_lshrrev_b32_e32 v13, v9, v11
	s_delay_alu instid0(VALU_DEP_2) | instskip(NEXT) | instid1(VALU_DEP_2)
	v_lshrrev_b32_e32 v14, v4, v12
	v_lshlrev_b32_e32 v9, v9, v13
	s_delay_alu instid0(VALU_DEP_2) | instskip(NEXT) | instid1(VALU_DEP_2)
	v_lshlrev_b32_e32 v4, v4, v14
	v_cmp_ne_u32_e32 vcc_lo, v9, v11
	v_lshl_or_b32 v11, v8, 12, v2
	s_wait_alu 0xfffd
	v_cndmask_b32_e64 v9, 0, 1, vcc_lo
	v_cmp_ne_u32_e32 vcc_lo, v4, v12
	v_lshl_or_b32 v12, v10, 12, v6
	s_delay_alu instid0(VALU_DEP_3) | instskip(SKIP_3) | instid1(VALU_DEP_2)
	v_or_b32_e32 v9, v13, v9
	s_wait_alu 0xfffd
	v_cndmask_b32_e64 v4, 0, 1, vcc_lo
	v_cmp_gt_i32_e32 vcc_lo, 1, v8
	v_or_b32_e32 v4, v14, v4
	s_wait_alu 0xfffd
	v_cndmask_b32_e32 v9, v11, v9, vcc_lo
	v_cmp_gt_i32_e32 vcc_lo, 1, v10
	s_wait_alu 0xfffd
	s_delay_alu instid0(VALU_DEP_2) | instskip(SKIP_2) | instid1(VALU_DEP_3)
	v_dual_cndmask_b32 v4, v12, v4 :: v_dual_and_b32 v11, 7, v9
	v_cmp_ne_u32_e32 vcc_lo, 0, v2
	v_lshrrev_b32_e32 v9, 2, v9
	v_cmp_eq_u32_e64 s0, 3, v11
	s_delay_alu instid0(VALU_DEP_4)
	v_and_b32_e32 v12, 7, v4
	s_wait_alu 0xfffd
	v_cndmask_b32_e64 v2, 0, 1, vcc_lo
	v_cmp_ne_u32_e32 vcc_lo, 0, v6
	v_lshrrev_b32_e32 v4, 2, v4
	v_cmp_lt_i32_e64 s1, 5, v12
	v_cmp_eq_u32_e64 s2, 3, v12
	s_wait_alu 0xfffd
	v_cndmask_b32_e64 v6, 0, 1, vcc_lo
	v_cmp_lt_i32_e32 vcc_lo, 5, v11
	v_lshl_or_b32 v2, v2, 9, 0x7c00
	s_delay_alu instid0(VALU_DEP_3)
	v_lshl_or_b32 v6, v6, 9, 0x7c00
	s_or_b32 vcc_lo, s0, vcc_lo
	s_wait_alu 0xfffe
	v_add_co_ci_u32_e32 v9, vcc_lo, 0, v9, vcc_lo
	s_or_b32 vcc_lo, s2, s1
	s_wait_alu 0xfffe
	v_add_co_ci_u32_e32 v4, vcc_lo, 0, v4, vcc_lo
	v_cmp_gt_i32_e32 vcc_lo, 31, v8
	s_wait_alu 0xfffd
	v_cndmask_b32_e32 v9, 0x7c00, v9, vcc_lo
	v_cmp_gt_i32_e32 vcc_lo, 31, v10
	s_wait_alu 0xfffd
	v_cndmask_b32_e32 v4, 0x7c00, v4, vcc_lo
	v_cmp_eq_u32_e32 vcc_lo, 0x40f, v8
	s_wait_alu 0xfffd
	v_cndmask_b32_e32 v2, v9, v2, vcc_lo
	v_cmp_eq_u32_e32 vcc_lo, 0x40f, v10
	s_delay_alu instid0(VALU_DEP_2)
	v_and_or_b32 v2, 0x8000, v5, v2
	s_wait_alu 0xfffd
	v_cndmask_b32_e32 v4, v4, v6, vcc_lo
	v_add_co_u32 v0, vcc_lo, v0, s6
	s_wait_alu 0xfffd
	v_add_co_ci_u32_e32 v1, vcc_lo, s7, v1, vcc_lo
	s_delay_alu instid0(VALU_DEP_3) | instskip(SKIP_1) | instid1(VALU_DEP_1)
	v_and_or_b32 v4, 0x8000, v7, v4
	v_and_b32_e32 v2, 0xffff, v2
	v_lshl_or_b32 v2, v4, 16, v2
	v_lshrrev_b32_e32 v4, 16, v3
	global_store_b32 v[0:1], v2, off
	global_load_b32 v2, v[56:57], off offset:3940
	s_wait_loadcnt 0x0
	v_lshrrev_b32_e32 v5, 16, v2
	s_delay_alu instid0(VALU_DEP_1) | instskip(SKIP_1) | instid1(VALU_DEP_2)
	v_mul_f16_e32 v6, v4, v5
	v_mul_f16_e32 v5, v3, v5
	v_fmac_f16_e32 v6, v3, v2
	s_delay_alu instid0(VALU_DEP_2) | instskip(NEXT) | instid1(VALU_DEP_2)
	v_fma_f16 v2, v2, v4, -v5
	v_cvt_f32_f16_e32 v3, v6
	s_delay_alu instid0(VALU_DEP_2) | instskip(NEXT) | instid1(VALU_DEP_2)
	v_cvt_f32_f16_e32 v4, v2
	v_cvt_f64_f32_e32 v[2:3], v3
	s_delay_alu instid0(VALU_DEP_2) | instskip(NEXT) | instid1(VALU_DEP_2)
	v_cvt_f64_f32_e32 v[4:5], v4
	v_mul_f64_e32 v[2:3], s[8:9], v[2:3]
	s_delay_alu instid0(VALU_DEP_2) | instskip(NEXT) | instid1(VALU_DEP_2)
	v_mul_f64_e32 v[4:5], s[8:9], v[4:5]
	v_and_or_b32 v2, 0x1ff, v3, v2
	s_delay_alu instid0(VALU_DEP_2)
	v_and_or_b32 v4, 0x1ff, v5, v4
	v_lshrrev_b32_e32 v6, 8, v3
	v_bfe_u32 v7, v3, 20, 11
	v_lshrrev_b32_e32 v8, 8, v5
	v_cmp_ne_u32_e32 vcc_lo, 0, v2
	v_bfe_u32 v9, v5, 20, 11
	v_lshrrev_b32_e32 v3, 16, v3
	v_sub_nc_u32_e32 v10, 0x3f1, v7
	v_add_nc_u32_e32 v7, 0xfffffc10, v7
	s_wait_alu 0xfffd
	v_cndmask_b32_e64 v2, 0, 1, vcc_lo
	v_cmp_ne_u32_e32 vcc_lo, 0, v4
	v_lshrrev_b32_e32 v5, 16, v5
	s_delay_alu instid0(VALU_DEP_3) | instskip(SKIP_4) | instid1(VALU_DEP_3)
	v_and_or_b32 v2, 0xffe, v6, v2
	s_wait_alu 0xfffd
	v_cndmask_b32_e64 v4, 0, 1, vcc_lo
	v_sub_nc_u32_e32 v6, 0x3f1, v9
	v_add_nc_u32_e32 v9, 0xfffffc10, v9
	v_and_or_b32 v4, 0xffe, v8, v4
	v_med3_i32 v8, v10, 0, 13
	v_or_b32_e32 v10, 0x1000, v2
	v_med3_i32 v6, v6, 0, 13
	s_delay_alu instid0(VALU_DEP_4) | instskip(NEXT) | instid1(VALU_DEP_3)
	v_or_b32_e32 v11, 0x1000, v4
	v_lshrrev_b32_e32 v12, v8, v10
	s_delay_alu instid0(VALU_DEP_2) | instskip(NEXT) | instid1(VALU_DEP_2)
	v_lshrrev_b32_e32 v13, v6, v11
	v_lshlrev_b32_e32 v8, v8, v12
	s_delay_alu instid0(VALU_DEP_2) | instskip(NEXT) | instid1(VALU_DEP_2)
	v_lshlrev_b32_e32 v6, v6, v13
	v_cmp_ne_u32_e32 vcc_lo, v8, v10
	v_lshl_or_b32 v10, v7, 12, v2
	s_wait_alu 0xfffd
	v_cndmask_b32_e64 v8, 0, 1, vcc_lo
	v_cmp_ne_u32_e32 vcc_lo, v6, v11
	v_lshl_or_b32 v11, v9, 12, v4
	s_delay_alu instid0(VALU_DEP_3) | instskip(SKIP_3) | instid1(VALU_DEP_2)
	v_or_b32_e32 v8, v12, v8
	s_wait_alu 0xfffd
	v_cndmask_b32_e64 v6, 0, 1, vcc_lo
	v_cmp_gt_i32_e32 vcc_lo, 1, v7
	v_or_b32_e32 v6, v13, v6
	s_wait_alu 0xfffd
	v_cndmask_b32_e32 v8, v10, v8, vcc_lo
	v_cmp_gt_i32_e32 vcc_lo, 1, v9
	s_delay_alu instid0(VALU_DEP_2)
	v_and_b32_e32 v10, 7, v8
	s_wait_alu 0xfffd
	v_cndmask_b32_e32 v6, v11, v6, vcc_lo
	v_cmp_ne_u32_e32 vcc_lo, 0, v2
	v_lshrrev_b32_e32 v8, 2, v8
	v_cmp_eq_u32_e64 s0, 3, v10
	s_delay_alu instid0(VALU_DEP_4)
	v_and_b32_e32 v11, 7, v6
	s_wait_alu 0xfffd
	v_cndmask_b32_e64 v2, 0, 1, vcc_lo
	v_cmp_ne_u32_e32 vcc_lo, 0, v4
	v_lshrrev_b32_e32 v6, 2, v6
	v_cmp_lt_i32_e64 s1, 5, v11
	v_cmp_eq_u32_e64 s2, 3, v11
	s_wait_alu 0xfffd
	v_cndmask_b32_e64 v4, 0, 1, vcc_lo
	v_cmp_lt_i32_e32 vcc_lo, 5, v10
	v_lshl_or_b32 v2, v2, 9, 0x7c00
	s_delay_alu instid0(VALU_DEP_3)
	v_lshl_or_b32 v4, v4, 9, 0x7c00
	s_or_b32 vcc_lo, s0, vcc_lo
	s_wait_alu 0xfffe
	v_add_co_ci_u32_e32 v8, vcc_lo, 0, v8, vcc_lo
	s_or_b32 vcc_lo, s2, s1
	s_wait_alu 0xfffe
	v_add_co_ci_u32_e32 v6, vcc_lo, 0, v6, vcc_lo
	v_cmp_gt_i32_e32 vcc_lo, 31, v7
	s_wait_alu 0xfffd
	v_cndmask_b32_e32 v8, 0x7c00, v8, vcc_lo
	v_cmp_gt_i32_e32 vcc_lo, 31, v9
	s_wait_alu 0xfffd
	v_cndmask_b32_e32 v6, 0x7c00, v6, vcc_lo
	v_cmp_eq_u32_e32 vcc_lo, 0x40f, v7
	s_wait_alu 0xfffd
	v_cndmask_b32_e32 v2, v8, v2, vcc_lo
	v_cmp_eq_u32_e32 vcc_lo, 0x40f, v9
	s_delay_alu instid0(VALU_DEP_2)
	v_and_or_b32 v2, 0x8000, v3, v2
	s_wait_alu 0xfffd
	v_cndmask_b32_e32 v4, v6, v4, vcc_lo
	v_add_co_u32 v0, vcc_lo, v0, s6
	s_wait_alu 0xfffd
	v_add_co_ci_u32_e32 v1, vcc_lo, s7, v1, vcc_lo
	s_delay_alu instid0(VALU_DEP_3) | instskip(SKIP_1) | instid1(VALU_DEP_1)
	v_and_or_b32 v3, 0x8000, v5, v4
	v_and_b32_e32 v2, 0xffff, v2
	v_lshl_or_b32 v2, v3, 16, v2
	global_store_b32 v[0:1], v2, off
	global_load_b32 v4, v[56:57], off offset:4440
	ds_load_2addr_b32 v[2:3], v65 offset0:86 offset1:211
	s_wait_dscnt 0x0
	v_lshrrev_b32_e32 v5, 16, v2
	s_wait_loadcnt 0x0
	v_lshrrev_b32_e32 v6, 16, v4
	s_delay_alu instid0(VALU_DEP_1) | instskip(SKIP_1) | instid1(VALU_DEP_2)
	v_mul_f16_e32 v7, v5, v6
	v_mul_f16_e32 v6, v2, v6
	v_fmac_f16_e32 v7, v2, v4
	s_delay_alu instid0(VALU_DEP_2) | instskip(NEXT) | instid1(VALU_DEP_2)
	v_fma_f16 v2, v4, v5, -v6
	v_cvt_f32_f16_e32 v4, v7
	s_delay_alu instid0(VALU_DEP_2) | instskip(NEXT) | instid1(VALU_DEP_2)
	v_cvt_f32_f16_e32 v2, v2
	v_cvt_f64_f32_e32 v[4:5], v4
	s_delay_alu instid0(VALU_DEP_2) | instskip(NEXT) | instid1(VALU_DEP_2)
	v_cvt_f64_f32_e32 v[6:7], v2
	v_mul_f64_e32 v[4:5], s[8:9], v[4:5]
	s_delay_alu instid0(VALU_DEP_2) | instskip(NEXT) | instid1(VALU_DEP_2)
	v_mul_f64_e32 v[6:7], s[8:9], v[6:7]
	v_and_or_b32 v2, 0x1ff, v5, v4
	s_delay_alu instid0(VALU_DEP_2)
	v_and_or_b32 v6, 0x1ff, v7, v6
	v_lshrrev_b32_e32 v4, 8, v5
	v_bfe_u32 v8, v5, 20, 11
	v_lshrrev_b32_e32 v9, 8, v7
	v_cmp_ne_u32_e32 vcc_lo, 0, v2
	v_bfe_u32 v10, v7, 20, 11
	v_lshrrev_b32_e32 v5, 16, v5
	v_sub_nc_u32_e32 v11, 0x3f1, v8
	v_add_nc_u32_e32 v8, 0xfffffc10, v8
	s_wait_alu 0xfffd
	v_cndmask_b32_e64 v2, 0, 1, vcc_lo
	v_cmp_ne_u32_e32 vcc_lo, 0, v6
	v_lshrrev_b32_e32 v7, 16, v7
	s_delay_alu instid0(VALU_DEP_3) | instskip(SKIP_4) | instid1(VALU_DEP_3)
	v_and_or_b32 v2, 0xffe, v4, v2
	s_wait_alu 0xfffd
	v_cndmask_b32_e64 v6, 0, 1, vcc_lo
	v_sub_nc_u32_e32 v4, 0x3f1, v10
	v_add_nc_u32_e32 v10, 0xfffffc10, v10
	v_and_or_b32 v6, 0xffe, v9, v6
	v_med3_i32 v9, v11, 0, 13
	v_or_b32_e32 v11, 0x1000, v2
	v_med3_i32 v4, v4, 0, 13
	s_delay_alu instid0(VALU_DEP_4) | instskip(NEXT) | instid1(VALU_DEP_3)
	v_or_b32_e32 v12, 0x1000, v6
	v_lshrrev_b32_e32 v13, v9, v11
	s_delay_alu instid0(VALU_DEP_2) | instskip(NEXT) | instid1(VALU_DEP_2)
	v_lshrrev_b32_e32 v14, v4, v12
	v_lshlrev_b32_e32 v9, v9, v13
	s_delay_alu instid0(VALU_DEP_2) | instskip(NEXT) | instid1(VALU_DEP_2)
	v_lshlrev_b32_e32 v4, v4, v14
	v_cmp_ne_u32_e32 vcc_lo, v9, v11
	v_lshl_or_b32 v11, v8, 12, v2
	s_wait_alu 0xfffd
	v_cndmask_b32_e64 v9, 0, 1, vcc_lo
	v_cmp_ne_u32_e32 vcc_lo, v4, v12
	v_lshl_or_b32 v12, v10, 12, v6
	s_delay_alu instid0(VALU_DEP_3) | instskip(SKIP_3) | instid1(VALU_DEP_2)
	v_or_b32_e32 v9, v13, v9
	s_wait_alu 0xfffd
	v_cndmask_b32_e64 v4, 0, 1, vcc_lo
	v_cmp_gt_i32_e32 vcc_lo, 1, v8
	v_or_b32_e32 v4, v14, v4
	s_wait_alu 0xfffd
	v_cndmask_b32_e32 v9, v11, v9, vcc_lo
	v_cmp_gt_i32_e32 vcc_lo, 1, v10
	s_wait_alu 0xfffd
	s_delay_alu instid0(VALU_DEP_2) | instskip(SKIP_2) | instid1(VALU_DEP_3)
	v_dual_cndmask_b32 v4, v12, v4 :: v_dual_and_b32 v11, 7, v9
	v_cmp_ne_u32_e32 vcc_lo, 0, v2
	v_lshrrev_b32_e32 v9, 2, v9
	v_cmp_eq_u32_e64 s0, 3, v11
	s_delay_alu instid0(VALU_DEP_4)
	v_and_b32_e32 v12, 7, v4
	s_wait_alu 0xfffd
	v_cndmask_b32_e64 v2, 0, 1, vcc_lo
	v_cmp_ne_u32_e32 vcc_lo, 0, v6
	v_lshrrev_b32_e32 v4, 2, v4
	v_cmp_lt_i32_e64 s1, 5, v12
	v_cmp_eq_u32_e64 s2, 3, v12
	s_wait_alu 0xfffd
	v_cndmask_b32_e64 v6, 0, 1, vcc_lo
	v_cmp_lt_i32_e32 vcc_lo, 5, v11
	v_lshl_or_b32 v2, v2, 9, 0x7c00
	s_delay_alu instid0(VALU_DEP_3)
	v_lshl_or_b32 v6, v6, 9, 0x7c00
	s_or_b32 vcc_lo, s0, vcc_lo
	s_wait_alu 0xfffe
	v_add_co_ci_u32_e32 v9, vcc_lo, 0, v9, vcc_lo
	s_or_b32 vcc_lo, s2, s1
	s_wait_alu 0xfffe
	v_add_co_ci_u32_e32 v4, vcc_lo, 0, v4, vcc_lo
	v_cmp_gt_i32_e32 vcc_lo, 31, v8
	s_wait_alu 0xfffd
	v_cndmask_b32_e32 v9, 0x7c00, v9, vcc_lo
	v_cmp_gt_i32_e32 vcc_lo, 31, v10
	s_wait_alu 0xfffd
	v_cndmask_b32_e32 v4, 0x7c00, v4, vcc_lo
	v_cmp_eq_u32_e32 vcc_lo, 0x40f, v8
	s_wait_alu 0xfffd
	v_cndmask_b32_e32 v2, v9, v2, vcc_lo
	v_cmp_eq_u32_e32 vcc_lo, 0x40f, v10
	s_delay_alu instid0(VALU_DEP_2)
	v_and_or_b32 v2, 0x8000, v5, v2
	s_wait_alu 0xfffd
	v_cndmask_b32_e32 v4, v4, v6, vcc_lo
	v_add_co_u32 v0, vcc_lo, v0, s6
	s_wait_alu 0xfffd
	v_add_co_ci_u32_e32 v1, vcc_lo, s7, v1, vcc_lo
	s_delay_alu instid0(VALU_DEP_3) | instskip(SKIP_1) | instid1(VALU_DEP_1)
	v_and_or_b32 v4, 0x8000, v7, v4
	v_and_b32_e32 v2, 0xffff, v2
	v_lshl_or_b32 v2, v4, 16, v2
	v_lshrrev_b32_e32 v4, 16, v3
	global_store_b32 v[0:1], v2, off
	global_load_b32 v2, v[56:57], off offset:4940
	s_wait_loadcnt 0x0
	v_lshrrev_b32_e32 v5, 16, v2
	s_delay_alu instid0(VALU_DEP_1) | instskip(SKIP_1) | instid1(VALU_DEP_2)
	v_mul_f16_e32 v6, v4, v5
	v_mul_f16_e32 v5, v3, v5
	v_fmac_f16_e32 v6, v3, v2
	s_delay_alu instid0(VALU_DEP_2) | instskip(NEXT) | instid1(VALU_DEP_2)
	v_fma_f16 v2, v2, v4, -v5
	v_cvt_f32_f16_e32 v3, v6
	s_delay_alu instid0(VALU_DEP_2) | instskip(NEXT) | instid1(VALU_DEP_2)
	v_cvt_f32_f16_e32 v4, v2
	v_cvt_f64_f32_e32 v[2:3], v3
	s_delay_alu instid0(VALU_DEP_2) | instskip(NEXT) | instid1(VALU_DEP_2)
	v_cvt_f64_f32_e32 v[4:5], v4
	v_mul_f64_e32 v[2:3], s[8:9], v[2:3]
	s_delay_alu instid0(VALU_DEP_2) | instskip(NEXT) | instid1(VALU_DEP_2)
	v_mul_f64_e32 v[4:5], s[8:9], v[4:5]
	v_and_or_b32 v2, 0x1ff, v3, v2
	s_delay_alu instid0(VALU_DEP_2)
	v_and_or_b32 v4, 0x1ff, v5, v4
	v_lshrrev_b32_e32 v6, 8, v3
	v_bfe_u32 v7, v3, 20, 11
	v_lshrrev_b32_e32 v8, 8, v5
	v_cmp_ne_u32_e32 vcc_lo, 0, v2
	v_bfe_u32 v9, v5, 20, 11
	v_lshrrev_b32_e32 v3, 16, v3
	v_sub_nc_u32_e32 v10, 0x3f1, v7
	v_add_nc_u32_e32 v7, 0xfffffc10, v7
	s_wait_alu 0xfffd
	v_cndmask_b32_e64 v2, 0, 1, vcc_lo
	v_cmp_ne_u32_e32 vcc_lo, 0, v4
	v_lshrrev_b32_e32 v5, 16, v5
	s_delay_alu instid0(VALU_DEP_3) | instskip(SKIP_4) | instid1(VALU_DEP_3)
	v_and_or_b32 v2, 0xffe, v6, v2
	s_wait_alu 0xfffd
	v_cndmask_b32_e64 v4, 0, 1, vcc_lo
	v_sub_nc_u32_e32 v6, 0x3f1, v9
	v_add_nc_u32_e32 v9, 0xfffffc10, v9
	v_and_or_b32 v4, 0xffe, v8, v4
	v_med3_i32 v8, v10, 0, 13
	v_or_b32_e32 v10, 0x1000, v2
	v_med3_i32 v6, v6, 0, 13
	s_delay_alu instid0(VALU_DEP_4) | instskip(NEXT) | instid1(VALU_DEP_3)
	v_or_b32_e32 v11, 0x1000, v4
	v_lshrrev_b32_e32 v12, v8, v10
	s_delay_alu instid0(VALU_DEP_2) | instskip(NEXT) | instid1(VALU_DEP_2)
	v_lshrrev_b32_e32 v13, v6, v11
	v_lshlrev_b32_e32 v8, v8, v12
	s_delay_alu instid0(VALU_DEP_2) | instskip(NEXT) | instid1(VALU_DEP_2)
	v_lshlrev_b32_e32 v6, v6, v13
	v_cmp_ne_u32_e32 vcc_lo, v8, v10
	v_lshl_or_b32 v10, v7, 12, v2
	s_wait_alu 0xfffd
	v_cndmask_b32_e64 v8, 0, 1, vcc_lo
	v_cmp_ne_u32_e32 vcc_lo, v6, v11
	v_lshl_or_b32 v11, v9, 12, v4
	s_delay_alu instid0(VALU_DEP_3) | instskip(SKIP_3) | instid1(VALU_DEP_2)
	v_or_b32_e32 v8, v12, v8
	s_wait_alu 0xfffd
	v_cndmask_b32_e64 v6, 0, 1, vcc_lo
	v_cmp_gt_i32_e32 vcc_lo, 1, v7
	v_or_b32_e32 v6, v13, v6
	s_wait_alu 0xfffd
	v_cndmask_b32_e32 v8, v10, v8, vcc_lo
	v_cmp_gt_i32_e32 vcc_lo, 1, v9
	s_delay_alu instid0(VALU_DEP_2)
	v_and_b32_e32 v10, 7, v8
	s_wait_alu 0xfffd
	v_cndmask_b32_e32 v6, v11, v6, vcc_lo
	v_cmp_ne_u32_e32 vcc_lo, 0, v2
	v_lshrrev_b32_e32 v8, 2, v8
	v_cmp_eq_u32_e64 s0, 3, v10
	s_delay_alu instid0(VALU_DEP_4)
	v_and_b32_e32 v11, 7, v6
	s_wait_alu 0xfffd
	v_cndmask_b32_e64 v2, 0, 1, vcc_lo
	v_cmp_ne_u32_e32 vcc_lo, 0, v4
	v_lshrrev_b32_e32 v6, 2, v6
	v_cmp_lt_i32_e64 s1, 5, v11
	v_cmp_eq_u32_e64 s2, 3, v11
	s_wait_alu 0xfffd
	v_cndmask_b32_e64 v4, 0, 1, vcc_lo
	v_cmp_lt_i32_e32 vcc_lo, 5, v10
	v_lshl_or_b32 v2, v2, 9, 0x7c00
	s_delay_alu instid0(VALU_DEP_3)
	v_lshl_or_b32 v4, v4, 9, 0x7c00
	s_or_b32 vcc_lo, s0, vcc_lo
	s_wait_alu 0xfffe
	v_add_co_ci_u32_e32 v8, vcc_lo, 0, v8, vcc_lo
	s_or_b32 vcc_lo, s2, s1
	s_wait_alu 0xfffe
	v_add_co_ci_u32_e32 v6, vcc_lo, 0, v6, vcc_lo
	v_cmp_gt_i32_e32 vcc_lo, 31, v7
	s_wait_alu 0xfffd
	v_cndmask_b32_e32 v8, 0x7c00, v8, vcc_lo
	v_cmp_gt_i32_e32 vcc_lo, 31, v9
	s_wait_alu 0xfffd
	v_cndmask_b32_e32 v6, 0x7c00, v6, vcc_lo
	v_cmp_eq_u32_e32 vcc_lo, 0x40f, v7
	s_wait_alu 0xfffd
	v_cndmask_b32_e32 v2, v8, v2, vcc_lo
	v_cmp_eq_u32_e32 vcc_lo, 0x40f, v9
	s_delay_alu instid0(VALU_DEP_2)
	v_and_or_b32 v2, 0x8000, v3, v2
	s_wait_alu 0xfffd
	v_cndmask_b32_e32 v4, v6, v4, vcc_lo
	v_add_co_u32 v0, vcc_lo, v0, s6
	s_wait_alu 0xfffd
	v_add_co_ci_u32_e32 v1, vcc_lo, s7, v1, vcc_lo
	s_delay_alu instid0(VALU_DEP_3) | instskip(SKIP_1) | instid1(VALU_DEP_1)
	v_and_or_b32 v3, 0x8000, v5, v4
	v_and_b32_e32 v2, 0xffff, v2
	v_lshl_or_b32 v2, v3, 16, v2
	global_store_b32 v[0:1], v2, off
	global_load_b32 v0, v[56:57], off offset:5440
	ds_load_b32 v1, v91 offset:5440
	s_wait_dscnt 0x0
	v_lshrrev_b32_e32 v2, 16, v1
	s_wait_loadcnt 0x0
	v_lshrrev_b32_e32 v3, 16, v0
	s_delay_alu instid0(VALU_DEP_1) | instskip(SKIP_1) | instid1(VALU_DEP_2)
	v_mul_f16_e32 v4, v2, v3
	v_mul_f16_e32 v3, v1, v3
	v_fmac_f16_e32 v4, v1, v0
	s_delay_alu instid0(VALU_DEP_2) | instskip(NEXT) | instid1(VALU_DEP_2)
	v_fma_f16 v0, v0, v2, -v3
	v_cvt_f32_f16_e32 v1, v4
	s_delay_alu instid0(VALU_DEP_2) | instskip(NEXT) | instid1(VALU_DEP_2)
	v_cvt_f32_f16_e32 v2, v0
	v_cvt_f64_f32_e32 v[0:1], v1
	s_delay_alu instid0(VALU_DEP_2) | instskip(NEXT) | instid1(VALU_DEP_2)
	v_cvt_f64_f32_e32 v[2:3], v2
	v_mul_f64_e32 v[0:1], s[8:9], v[0:1]
	s_delay_alu instid0(VALU_DEP_2) | instskip(NEXT) | instid1(VALU_DEP_2)
	v_mul_f64_e32 v[2:3], s[8:9], v[2:3]
	v_and_or_b32 v0, 0x1ff, v1, v0
	s_delay_alu instid0(VALU_DEP_2)
	v_and_or_b32 v2, 0x1ff, v3, v2
	v_lshrrev_b32_e32 v4, 8, v1
	v_bfe_u32 v6, v1, 20, 11
	v_bfe_u32 v7, v3, 20, 11
	v_cmp_ne_u32_e32 vcc_lo, 0, v0
	v_lshrrev_b32_e32 v5, 8, v3
	v_lshrrev_b32_e32 v3, 16, v3
	v_sub_nc_u32_e32 v8, 0x3f1, v6
	v_sub_nc_u32_e32 v9, 0x3f1, v7
	s_wait_alu 0xfffd
	v_cndmask_b32_e64 v0, 0, 1, vcc_lo
	v_cmp_ne_u32_e32 vcc_lo, 0, v2
	v_add_nc_u32_e32 v7, 0xfffffc10, v7
	s_delay_alu instid0(VALU_DEP_3)
	v_and_or_b32 v10, 0xffe, v4, v0
	s_wait_alu 0xfffd
	v_cndmask_b32_e64 v2, 0, 1, vcc_lo
	v_med3_i32 v0, v8, 0, 13
	v_med3_i32 v8, v9, 0, 13
	v_or_b32_e32 v9, 0x1000, v10
	s_delay_alu instid0(VALU_DEP_4) | instskip(SKIP_1) | instid1(VALU_DEP_3)
	v_and_or_b32 v2, 0xffe, v5, v2
	v_mad_co_u64_u32 v[4:5], null, s4, v92, 0
	v_lshrrev_b32_e32 v12, v0, v9
	s_delay_alu instid0(VALU_DEP_3) | instskip(NEXT) | instid1(VALU_DEP_2)
	v_or_b32_e32 v11, 0x1000, v2
	v_lshlrev_b32_e32 v14, v0, v12
	s_delay_alu instid0(VALU_DEP_2) | instskip(SKIP_1) | instid1(VALU_DEP_3)
	v_lshrrev_b32_e32 v13, v8, v11
	v_mov_b32_e32 v0, v5
	v_cmp_ne_u32_e32 vcc_lo, v14, v9
	s_delay_alu instid0(VALU_DEP_3) | instskip(SKIP_3) | instid1(VALU_DEP_3)
	v_lshlrev_b32_e32 v5, v8, v13
	v_add_nc_u32_e32 v8, 0xfffffc10, v6
	s_wait_alu 0xfffd
	v_cndmask_b32_e64 v9, 0, 1, vcc_lo
	v_cmp_ne_u32_e32 vcc_lo, v5, v11
	v_mad_co_u64_u32 v[5:6], null, s5, v92, v[0:1]
	v_lshl_or_b32 v0, v8, 12, v10
	s_delay_alu instid0(VALU_DEP_4)
	v_or_b32_e32 v6, v12, v9
	s_wait_alu 0xfffd
	v_cndmask_b32_e64 v11, 0, 1, vcc_lo
	v_cmp_gt_i32_e32 vcc_lo, 1, v8
	v_lshl_or_b32 v9, v7, 12, v2
	v_lshrrev_b32_e32 v1, 16, v1
	s_delay_alu instid0(VALU_DEP_4)
	v_or_b32_e32 v11, v13, v11
	s_wait_alu 0xfffd
	v_cndmask_b32_e32 v0, v0, v6, vcc_lo
	v_cmp_gt_i32_e32 vcc_lo, 1, v7
	s_wait_alu 0xfffd
	v_cndmask_b32_e32 v6, v9, v11, vcc_lo
	v_cmp_ne_u32_e32 vcc_lo, 0, v10
	v_and_b32_e32 v10, 7, v0
	v_lshrrev_b32_e32 v0, 2, v0
	s_delay_alu instid0(VALU_DEP_4)
	v_and_b32_e32 v11, 7, v6
	s_wait_alu 0xfffd
	v_cndmask_b32_e64 v9, 0, 1, vcc_lo
	v_cmp_ne_u32_e32 vcc_lo, 0, v2
	v_cmp_eq_u32_e64 s0, 3, v10
	v_lshrrev_b32_e32 v6, 2, v6
	v_cmp_lt_i32_e64 s1, 5, v11
	v_cmp_eq_u32_e64 s2, 3, v11
	s_wait_alu 0xfffd
	v_cndmask_b32_e64 v2, 0, 1, vcc_lo
	v_cmp_lt_i32_e32 vcc_lo, 5, v10
	v_lshl_or_b32 v9, v9, 9, 0x7c00
	s_delay_alu instid0(VALU_DEP_3)
	v_lshl_or_b32 v2, v2, 9, 0x7c00
	s_or_b32 vcc_lo, s0, vcc_lo
	s_wait_alu 0xfffe
	v_add_co_ci_u32_e32 v0, vcc_lo, 0, v0, vcc_lo
	s_or_b32 vcc_lo, s2, s1
	s_wait_alu 0xfffe
	v_add_co_ci_u32_e32 v6, vcc_lo, 0, v6, vcc_lo
	v_cmp_gt_i32_e32 vcc_lo, 31, v8
	s_wait_alu 0xfffd
	v_cndmask_b32_e32 v0, 0x7c00, v0, vcc_lo
	v_cmp_gt_i32_e32 vcc_lo, 31, v7
	s_wait_alu 0xfffd
	v_cndmask_b32_e32 v6, 0x7c00, v6, vcc_lo
	v_cmp_eq_u32_e32 vcc_lo, 0x40f, v8
	s_wait_alu 0xfffd
	v_cndmask_b32_e32 v0, v0, v9, vcc_lo
	v_cmp_eq_u32_e32 vcc_lo, 0x40f, v7
	s_delay_alu instid0(VALU_DEP_2) | instskip(SKIP_2) | instid1(VALU_DEP_1)
	v_and_or_b32 v0, 0x8000, v1, v0
	s_wait_alu 0xfffd
	v_cndmask_b32_e32 v2, v6, v2, vcc_lo
	v_and_or_b32 v2, 0x8000, v3, v2
	s_delay_alu instid0(VALU_DEP_3) | instskip(SKIP_1) | instid1(VALU_DEP_2)
	v_and_b32_e32 v3, 0xffff, v0
	v_lshlrev_b64_e32 v[0:1], 2, v[4:5]
	v_lshl_or_b32 v2, v2, 16, v3
	s_delay_alu instid0(VALU_DEP_2) | instskip(SKIP_1) | instid1(VALU_DEP_3)
	v_add_co_u32 v0, vcc_lo, v16, v0
	s_wait_alu 0xfffd
	v_add_co_ci_u32_e32 v1, vcc_lo, v17, v1, vcc_lo
	global_store_b32 v[0:1], v2, off
.LBB0_15:
	s_nop 0
	s_sendmsg sendmsg(MSG_DEALLOC_VGPRS)
	s_endpgm
	.section	.rodata,"a",@progbits
	.p2align	6, 0x0
	.amdhsa_kernel bluestein_single_fwd_len1375_dim1_half_op_CI_CI
		.amdhsa_group_segment_fixed_size 5500
		.amdhsa_private_segment_fixed_size 0
		.amdhsa_kernarg_size 104
		.amdhsa_user_sgpr_count 2
		.amdhsa_user_sgpr_dispatch_ptr 0
		.amdhsa_user_sgpr_queue_ptr 0
		.amdhsa_user_sgpr_kernarg_segment_ptr 1
		.amdhsa_user_sgpr_dispatch_id 0
		.amdhsa_user_sgpr_private_segment_size 0
		.amdhsa_wavefront_size32 1
		.amdhsa_uses_dynamic_stack 0
		.amdhsa_enable_private_segment 0
		.amdhsa_system_sgpr_workgroup_id_x 1
		.amdhsa_system_sgpr_workgroup_id_y 0
		.amdhsa_system_sgpr_workgroup_id_z 0
		.amdhsa_system_sgpr_workgroup_info 0
		.amdhsa_system_vgpr_workitem_id 0
		.amdhsa_next_free_vgpr 254
		.amdhsa_next_free_sgpr 17
		.amdhsa_reserve_vcc 1
		.amdhsa_float_round_mode_32 0
		.amdhsa_float_round_mode_16_64 0
		.amdhsa_float_denorm_mode_32 3
		.amdhsa_float_denorm_mode_16_64 3
		.amdhsa_fp16_overflow 0
		.amdhsa_workgroup_processor_mode 1
		.amdhsa_memory_ordered 1
		.amdhsa_forward_progress 0
		.amdhsa_round_robin_scheduling 0
		.amdhsa_exception_fp_ieee_invalid_op 0
		.amdhsa_exception_fp_denorm_src 0
		.amdhsa_exception_fp_ieee_div_zero 0
		.amdhsa_exception_fp_ieee_overflow 0
		.amdhsa_exception_fp_ieee_underflow 0
		.amdhsa_exception_fp_ieee_inexact 0
		.amdhsa_exception_int_div_zero 0
	.end_amdhsa_kernel
	.text
.Lfunc_end0:
	.size	bluestein_single_fwd_len1375_dim1_half_op_CI_CI, .Lfunc_end0-bluestein_single_fwd_len1375_dim1_half_op_CI_CI
                                        ; -- End function
	.section	.AMDGPU.csdata,"",@progbits
; Kernel info:
; codeLenInByte = 67076
; NumSgprs: 19
; NumVgprs: 254
; ScratchSize: 0
; MemoryBound: 0
; FloatMode: 240
; IeeeMode: 1
; LDSByteSize: 5500 bytes/workgroup (compile time only)
; SGPRBlocks: 2
; VGPRBlocks: 31
; NumSGPRsForWavesPerEU: 19
; NumVGPRsForWavesPerEU: 254
; Occupancy: 5
; WaveLimiterHint : 1
; COMPUTE_PGM_RSRC2:SCRATCH_EN: 0
; COMPUTE_PGM_RSRC2:USER_SGPR: 2
; COMPUTE_PGM_RSRC2:TRAP_HANDLER: 0
; COMPUTE_PGM_RSRC2:TGID_X_EN: 1
; COMPUTE_PGM_RSRC2:TGID_Y_EN: 0
; COMPUTE_PGM_RSRC2:TGID_Z_EN: 0
; COMPUTE_PGM_RSRC2:TIDIG_COMP_CNT: 0
	.text
	.p2alignl 7, 3214868480
	.fill 96, 4, 3214868480
	.type	__hip_cuid_8bda44929f6484a4,@object ; @__hip_cuid_8bda44929f6484a4
	.section	.bss,"aw",@nobits
	.globl	__hip_cuid_8bda44929f6484a4
__hip_cuid_8bda44929f6484a4:
	.byte	0                               ; 0x0
	.size	__hip_cuid_8bda44929f6484a4, 1

	.ident	"AMD clang version 19.0.0git (https://github.com/RadeonOpenCompute/llvm-project roc-6.4.0 25133 c7fe45cf4b819c5991fe208aaa96edf142730f1d)"
	.section	".note.GNU-stack","",@progbits
	.addrsig
	.addrsig_sym __hip_cuid_8bda44929f6484a4
	.amdgpu_metadata
---
amdhsa.kernels:
  - .args:
      - .actual_access:  read_only
        .address_space:  global
        .offset:         0
        .size:           8
        .value_kind:     global_buffer
      - .actual_access:  read_only
        .address_space:  global
        .offset:         8
        .size:           8
        .value_kind:     global_buffer
      - .actual_access:  read_only
        .address_space:  global
        .offset:         16
        .size:           8
        .value_kind:     global_buffer
      - .actual_access:  read_only
        .address_space:  global
        .offset:         24
        .size:           8
        .value_kind:     global_buffer
      - .actual_access:  read_only
        .address_space:  global
        .offset:         32
        .size:           8
        .value_kind:     global_buffer
      - .offset:         40
        .size:           8
        .value_kind:     by_value
      - .address_space:  global
        .offset:         48
        .size:           8
        .value_kind:     global_buffer
      - .address_space:  global
        .offset:         56
        .size:           8
        .value_kind:     global_buffer
      - .address_space:  global
        .offset:         64
        .size:           8
        .value_kind:     global_buffer
      - .address_space:  global
        .offset:         72
        .size:           8
        .value_kind:     global_buffer
      - .offset:         80
        .size:           4
        .value_kind:     by_value
      - .address_space:  global
        .offset:         88
        .size:           8
        .value_kind:     global_buffer
      - .address_space:  global
        .offset:         96
        .size:           8
        .value_kind:     global_buffer
    .group_segment_fixed_size: 5500
    .kernarg_segment_align: 8
    .kernarg_segment_size: 104
    .language:       OpenCL C
    .language_version:
      - 2
      - 0
    .max_flat_workgroup_size: 55
    .name:           bluestein_single_fwd_len1375_dim1_half_op_CI_CI
    .private_segment_fixed_size: 0
    .sgpr_count:     19
    .sgpr_spill_count: 0
    .symbol:         bluestein_single_fwd_len1375_dim1_half_op_CI_CI.kd
    .uniform_work_group_size: 1
    .uses_dynamic_stack: false
    .vgpr_count:     254
    .vgpr_spill_count: 0
    .wavefront_size: 32
    .workgroup_processor_mode: 1
amdhsa.target:   amdgcn-amd-amdhsa--gfx1201
amdhsa.version:
  - 1
  - 2
...

	.end_amdgpu_metadata
